;; amdgpu-corpus repo=ROCm/rocFFT kind=compiled arch=gfx906 opt=O3
	.text
	.amdgcn_target "amdgcn-amd-amdhsa--gfx906"
	.amdhsa_code_object_version 6
	.protected	bluestein_single_back_len1120_dim1_half_op_CI_CI ; -- Begin function bluestein_single_back_len1120_dim1_half_op_CI_CI
	.globl	bluestein_single_back_len1120_dim1_half_op_CI_CI
	.p2align	8
	.type	bluestein_single_back_len1120_dim1_half_op_CI_CI,@function
bluestein_single_back_len1120_dim1_half_op_CI_CI: ; @bluestein_single_back_len1120_dim1_half_op_CI_CI
; %bb.0:
	s_load_dwordx4 s[12:15], s[4:5], 0x28
	v_mul_u32_u24_e32 v1, 0x125, v0
	v_add_u32_sdwa v10, s6, v1 dst_sel:DWORD dst_unused:UNUSED_PAD src0_sel:DWORD src1_sel:WORD_1
	v_mov_b32_e32 v11, 0
	s_waitcnt lgkmcnt(0)
	v_cmp_gt_u64_e32 vcc, s[12:13], v[10:11]
	s_and_saveexec_b64 s[0:1], vcc
	s_cbranch_execz .LBB0_55
; %bb.1:
	s_load_dwordx4 s[0:3], s[4:5], 0x18
	s_load_dwordx2 s[12:13], s[4:5], 0x0
	s_load_dwordx2 s[6:7], s[4:5], 0x38
	s_waitcnt lgkmcnt(0)
	s_load_dwordx4 s[8:11], s[0:1], 0x0
	s_movk_i32 s0, 0xe0
	v_mul_lo_u16_sdwa v1, v1, s0 dst_sel:DWORD dst_unused:UNUSED_PAD src0_sel:WORD_1 src1_sel:DWORD
	v_sub_u16_e32 v23, v0, v1
	v_lshlrev_b32_e32 v19, 2, v23
	s_waitcnt lgkmcnt(0)
	v_mad_u64_u32 v[0:1], s[0:1], s10, v10, 0
	v_mad_u64_u32 v[2:3], s[0:1], s8, v23, 0
	global_load_dword v24, v19, s[12:13]
	v_mad_u64_u32 v[4:5], s[0:1], s11, v10, v[1:2]
	v_mad_u64_u32 v[5:6], s[0:1], s9, v23, v[3:4]
	v_mov_b32_e32 v1, v4
	v_lshlrev_b64 v[0:1], 2, v[0:1]
	v_mov_b32_e32 v6, s15
	v_mov_b32_e32 v3, v5
	v_add_co_u32_e32 v4, vcc, s14, v0
	v_addc_co_u32_e32 v5, vcc, v6, v1, vcc
	v_lshlrev_b64 v[0:1], 2, v[2:3]
	s_mul_i32 s0, s9, 0x230
	s_mul_hi_u32 s1, s8, 0x230
	s_add_i32 s1, s1, s0
	s_mul_i32 s0, s8, 0x230
	v_add_co_u32_e32 v0, vcc, v4, v0
	s_lshl_b64 s[14:15], s[0:1], 2
	s_mul_hi_u32 s1, s8, 0xfffffeb0
	v_addc_co_u32_e32 v1, vcc, v5, v1, vcc
	s_mul_i32 s0, s9, 0xfffffeb0
	s_sub_i32 s1, s1, s8
	v_mov_b32_e32 v4, s15
	v_add_co_u32_e32 v2, vcc, s14, v0
	s_add_i32 s1, s1, s0
	s_mul_i32 s0, s8, 0xfffffeb0
	v_addc_co_u32_e32 v3, vcc, v1, v4, vcc
	s_lshl_b64 s[16:17], s[0:1], 2
	global_load_dword v5, v[0:1], off
	global_load_dword v6, v[2:3], off
	global_load_dword v22, v19, s[12:13] offset:2240
	v_mov_b32_e32 v1, s17
	v_add_co_u32_e32 v0, vcc, s16, v2
	v_addc_co_u32_e32 v1, vcc, v3, v1, vcc
	global_load_dword v2, v[0:1], off
	global_load_dword v20, v19, s[12:13] offset:3136
	global_load_dword v21, v19, s[12:13] offset:896
	v_add_co_u32_e32 v0, vcc, s14, v0
	v_addc_co_u32_e32 v1, vcc, v1, v4, vcc
	global_load_dword v3, v[0:1], off
	s_load_dwordx4 s[8:11], s[2:3], 0x0
	v_mov_b32_e32 v4, s13
	v_add_co_u32_e64 v8, s[2:3], s12, v19
	v_addc_co_u32_e64 v9, vcc, 0, v4, s[2:3]
	s_movk_i32 s0, 0x70
	v_cmp_gt_u16_e64 s[0:1], s0, v23
	s_waitcnt vmcnt(6)
	v_lshrrev_b32_e32 v4, 16, v5
	v_mul_f16_sdwa v7, v24, v5 dst_sel:DWORD dst_unused:UNUSED_PAD src0_sel:WORD_1 src1_sel:DWORD
	v_mul_f16_sdwa v11, v24, v4 dst_sel:DWORD dst_unused:UNUSED_PAD src0_sel:WORD_1 src1_sel:DWORD
	v_fma_f16 v4, v24, v4, -v7
	s_waitcnt vmcnt(5)
	v_lshrrev_b32_e32 v7, 16, v6
	s_waitcnt vmcnt(4)
	v_mul_f16_sdwa v12, v22, v6 dst_sel:DWORD dst_unused:UNUSED_PAD src0_sel:WORD_1 src1_sel:DWORD
	v_fma_f16 v5, v24, v5, v11
	v_mul_f16_sdwa v11, v22, v7 dst_sel:DWORD dst_unused:UNUSED_PAD src0_sel:WORD_1 src1_sel:DWORD
	v_fma_f16 v7, v22, v7, -v12
	s_waitcnt vmcnt(3)
	v_lshrrev_b32_e32 v12, 16, v2
	s_waitcnt vmcnt(1)
	v_mul_f16_sdwa v13, v21, v2 dst_sel:DWORD dst_unused:UNUSED_PAD src0_sel:WORD_1 src1_sel:DWORD
	v_pack_b32_f16 v4, v5, v4
	v_fma_f16 v5, v22, v6, v11
	v_mul_f16_sdwa v6, v21, v12 dst_sel:DWORD dst_unused:UNUSED_PAD src0_sel:WORD_1 src1_sel:DWORD
	v_fma_f16 v11, v21, v12, -v13
	s_waitcnt vmcnt(0)
	v_lshrrev_b32_e32 v12, 16, v3
	v_mul_f16_sdwa v13, v20, v3 dst_sel:DWORD dst_unused:UNUSED_PAD src0_sel:WORD_1 src1_sel:DWORD
	v_fma_f16 v2, v21, v2, v6
	v_mul_f16_sdwa v6, v20, v12 dst_sel:DWORD dst_unused:UNUSED_PAD src0_sel:WORD_1 src1_sel:DWORD
	v_pack_b32_f16 v5, v5, v7
	v_fma_f16 v7, v20, v12, -v13
	v_pack_b32_f16 v2, v2, v11
	v_fma_f16 v3, v20, v3, v6
	ds_write_b32 v19, v5 offset:2240
	ds_write2_b32 v19, v4, v2 offset1:224
	v_pack_b32_f16 v2, v3, v7
	ds_write_b32 v19, v2 offset:3136
	s_and_saveexec_b64 s[18:19], s[0:1]
	s_cbranch_execz .LBB0_3
; %bb.2:
	v_mov_b32_e32 v2, s17
	v_add_co_u32_e32 v0, vcc, s16, v0
	v_addc_co_u32_e32 v1, vcc, v1, v2, vcc
	global_load_dword v2, v[0:1], off
	global_load_dword v3, v[8:9], off offset:1792
	v_mov_b32_e32 v4, s15
	v_add_co_u32_e32 v0, vcc, s14, v0
	v_addc_co_u32_e32 v1, vcc, v1, v4, vcc
	global_load_dword v4, v[0:1], off
	global_load_dword v5, v[8:9], off offset:4032
	s_waitcnt vmcnt(3)
	v_lshrrev_b32_e32 v0, 16, v2
	s_waitcnt vmcnt(2)
	v_mul_f16_sdwa v1, v3, v2 dst_sel:DWORD dst_unused:UNUSED_PAD src0_sel:WORD_1 src1_sel:DWORD
	v_mul_f16_sdwa v6, v3, v0 dst_sel:DWORD dst_unused:UNUSED_PAD src0_sel:WORD_1 src1_sel:DWORD
	v_fma_f16 v0, v3, v0, -v1
	v_fma_f16 v2, v3, v2, v6
	v_pack_b32_f16 v0, v2, v0
	s_waitcnt vmcnt(1)
	v_lshrrev_b32_e32 v1, 16, v4
	s_waitcnt vmcnt(0)
	v_mul_f16_sdwa v7, v5, v4 dst_sel:DWORD dst_unused:UNUSED_PAD src0_sel:WORD_1 src1_sel:DWORD
	v_mul_f16_sdwa v3, v5, v1 dst_sel:DWORD dst_unused:UNUSED_PAD src0_sel:WORD_1 src1_sel:DWORD
	v_fma_f16 v1, v5, v1, -v7
	v_fma_f16 v2, v5, v4, v3
	ds_write_b32 v19, v0 offset:1792
	v_pack_b32_f16 v0, v2, v1
	ds_write_b32 v19, v0 offset:4032
.LBB0_3:
	s_or_b64 exec, exec, s[18:19]
	v_add_u32_e32 v0, 0x880, v19
	s_waitcnt lgkmcnt(0)
	s_barrier
	ds_read2_b32 v[2:3], v19 offset1:224
	ds_read2_b32 v[0:1], v0 offset0:16 offset1:240
                                        ; implicit-def: $vgpr4
                                        ; implicit-def: $vgpr5
	s_and_saveexec_b64 s[14:15], s[0:1]
	s_cbranch_execz .LBB0_5
; %bb.4:
	ds_read_b32 v4, v19 offset:1792
	ds_read_b32 v5, v19 offset:4032
.LBB0_5:
	s_or_b64 exec, exec, s[14:15]
	s_load_dwordx2 s[14:15], s[4:5], 0x8
	s_waitcnt lgkmcnt(0)
	v_pk_add_f16 v12, v2, v0 neg_lo:[0,1] neg_hi:[0,1]
	v_lshlrev_b32_e32 v6, 1, v23
	v_add_co_u32_e32 v7, vcc, 0x1c0, v23
	v_pk_add_f16 v13, v3, v1 neg_lo:[0,1] neg_hi:[0,1]
	v_pk_add_f16 v1, v4, v5 neg_lo:[0,1] neg_hi:[0,1]
	v_lshlrev_b32_e32 v28, 3, v23
	v_pk_fma_f16 v11, v2, 2.0, v12 op_sel_hi:[1,0,1] neg_lo:[0,0,1] neg_hi:[0,0,1]
	v_pk_fma_f16 v0, v4, 2.0, v1 op_sel_hi:[1,0,1] neg_lo:[0,0,1] neg_hi:[0,0,1]
	s_barrier
	ds_write_b64 v28, v[11:12]
	v_add_u32_e32 v29, 0x1c0, v6
	v_lshlrev_b32_e32 v2, 2, v6
	v_pk_fma_f16 v12, v3, 2.0, v13 op_sel_hi:[1,0,1] neg_lo:[0,0,1] neg_hi:[0,0,1]
	v_lshlrev_b32_e32 v18, 3, v7
	ds_write_b64 v2, v[12:13] offset:1792
	s_and_saveexec_b64 s[4:5], s[0:1]
	s_cbranch_execz .LBB0_7
; %bb.6:
	ds_write_b64 v18, v[0:1]
.LBB0_7:
	s_or_b64 exec, exec, s[4:5]
	v_add_u32_e32 v4, 0x880, v19
	s_waitcnt lgkmcnt(0)
	s_barrier
	ds_read2_b32 v[2:3], v19 offset1:224
	ds_read2_b32 v[4:5], v4 offset0:16 offset1:240
	s_and_saveexec_b64 s[4:5], s[0:1]
	s_cbranch_execz .LBB0_9
; %bb.8:
	ds_read_b32 v0, v19 offset:1792
	ds_read_b32 v1, v19 offset:4032
.LBB0_9:
	s_or_b64 exec, exec, s[4:5]
	v_and_b32_e32 v26, 1, v23
	v_lshlrev_b32_e32 v11, 2, v26
	global_load_dword v27, v11, s[14:15]
	s_movk_i32 s4, 0x1fc
	s_movk_i32 s5, 0x3fc
	v_and_or_b32 v17, v6, s4, v26
	s_waitcnt lgkmcnt(0)
	v_lshrrev_b32_e32 v11, 16, v4
	v_lshrrev_b32_e32 v15, 16, v1
	v_and_or_b32 v25, v29, s5, v26
	v_lshlrev_b32_e32 v31, 2, v17
	v_lshrrev_b32_e32 v12, 16, v5
	v_lshlrev_b32_e32 v30, 2, v25
	v_lshrrev_b32_e32 v13, 16, v2
	v_lshrrev_b32_e32 v16, 16, v0
	;; [unrolled: 1-line block ×3, first 2 shown]
	s_waitcnt vmcnt(0)
	s_barrier
	v_lshrrev_b32_e32 v33, 16, v27
	v_mul_f16_e32 v17, v1, v27
	v_mul_f16_e32 v25, v15, v27
	;; [unrolled: 1-line block ×4, first 2 shown]
	v_fma_f16 v15, -v15, v33, v17
	v_mul_f16_e32 v35, v12, v33
	v_mul_f16_e32 v36, v5, v33
	v_fma_f16 v1, v1, v33, v25
	v_fma_f16 v4, v4, v27, -v32
	v_fma_f16 v17, v11, v27, v34
	v_sub_f16_e32 v11, v0, v15
	v_fma_f16 v5, v5, v27, -v35
	v_fma_f16 v25, v12, v27, v36
	v_sub_f16_e32 v12, v16, v1
	v_sub_f16_e32 v1, v2, v4
	v_fma_f16 v4, v0, 2.0, -v11
	v_sub_f16_e32 v0, v13, v17
	v_sub_f16_e32 v15, v3, v5
	;; [unrolled: 1-line block ×3, first 2 shown]
	v_fma_f16 v2, v2, 2.0, -v1
	v_fma_f16 v13, v13, 2.0, -v0
	;; [unrolled: 1-line block ×4, first 2 shown]
	v_pack_b32_f16 v0, v1, v0
	v_fma_f16 v1, v14, 2.0, -v17
	v_pack_b32_f16 v2, v2, v13
	v_lshlrev_b32_e32 v25, 1, v7
	v_pack_b32_f16 v14, v15, v17
	v_pack_b32_f16 v1, v3, v1
	ds_write2_b32 v31, v2, v0 offset1:2
	ds_write2_b32 v30, v1, v14 offset1:2
	s_and_saveexec_b64 s[4:5], s[0:1]
	s_cbranch_execz .LBB0_11
; %bb.10:
	s_movk_i32 s12, 0x7fc
	v_and_or_b32 v0, v25, s12, v26
	s_mov_b32 s12, 0x5040100
	v_lshlrev_b32_e32 v0, 2, v0
	v_perm_b32 v1, v5, v4, s12
	v_perm_b32 v2, v12, v11, s12
	ds_write2_b32 v0, v1, v2 offset1:2
.LBB0_11:
	s_or_b64 exec, exec, s[4:5]
	v_add_u32_e32 v2, 0x880, v19
	s_waitcnt lgkmcnt(0)
	s_barrier
	ds_read2_b32 v[0:1], v19 offset1:224
	ds_read2_b32 v[2:3], v2 offset0:16 offset1:240
	s_and_saveexec_b64 s[4:5], s[0:1]
	s_cbranch_execz .LBB0_13
; %bb.12:
	ds_read_b32 v4, v19 offset:1792
	ds_read_b32 v11, v19 offset:4032
	s_waitcnt lgkmcnt(1)
	v_lshrrev_b32_e32 v5, 16, v4
	s_waitcnt lgkmcnt(0)
	v_lshrrev_b32_e32 v12, 16, v11
.LBB0_13:
	s_or_b64 exec, exec, s[4:5]
	v_and_b32_e32 v32, 3, v23
	v_lshlrev_b32_e32 v7, 2, v32
	global_load_dword v34, v7, s[14:15] offset:8
	s_movk_i32 s4, 0x1f8
	s_movk_i32 s5, 0x3f8
	s_waitcnt lgkmcnt(0)
	v_lshrrev_b32_e32 v7, 16, v2
	v_and_or_b32 v16, v6, s4, v32
	v_and_or_b32 v17, v29, s5, v32
	v_lshrrev_b32_e32 v15, 16, v3
	v_lshlrev_b32_e32 v37, 2, v16
	v_lshlrev_b32_e32 v36, 2, v17
	v_lshrrev_b32_e32 v13, 16, v0
	v_lshrrev_b32_e32 v14, 16, v1
	s_waitcnt vmcnt(0)
	s_barrier
	v_mul_f16_sdwa v16, v7, v34 dst_sel:DWORD dst_unused:UNUSED_PAD src0_sel:DWORD src1_sel:WORD_1
	v_mul_f16_sdwa v17, v2, v34 dst_sel:DWORD dst_unused:UNUSED_PAD src0_sel:DWORD src1_sel:WORD_1
	;; [unrolled: 1-line block ×6, first 2 shown]
	v_fma_f16 v2, v2, v34, -v16
	v_fma_f16 v7, v7, v34, v17
	v_fma_f16 v3, v3, v34, -v35
	v_fma_f16 v15, v15, v34, v38
	;; [unrolled: 2-line block ×3, first 2 shown]
	v_sub_f16_e32 v2, v0, v2
	v_sub_f16_e32 v16, v13, v7
	;; [unrolled: 1-line block ×6, first 2 shown]
	v_fma_f16 v0, v0, 2.0, -v2
	v_fma_f16 v12, v13, 2.0, -v16
	;; [unrolled: 1-line block ×6, first 2 shown]
	v_pack_b32_f16 v2, v2, v16
	v_pack_b32_f16 v0, v0, v12
	;; [unrolled: 1-line block ×4, first 2 shown]
	ds_write2_b32 v37, v0, v2 offset1:4
	ds_write2_b32 v36, v1, v3 offset1:4
	s_and_saveexec_b64 s[4:5], s[0:1]
	s_cbranch_execz .LBB0_15
; %bb.14:
	s_movk_i32 s12, 0x7f8
	v_and_or_b32 v0, v25, s12, v32
	s_mov_b32 s12, 0x5040100
	v_lshlrev_b32_e32 v0, 2, v0
	v_perm_b32 v1, v5, v4, s12
	v_perm_b32 v2, v11, v7, s12
	ds_write2_b32 v0, v1, v2 offset1:4
.LBB0_15:
	s_or_b64 exec, exec, s[4:5]
	v_add_u32_e32 v2, 0x880, v19
	s_waitcnt lgkmcnt(0)
	s_barrier
	ds_read2_b32 v[0:1], v19 offset1:224
	ds_read2_b32 v[2:3], v2 offset0:16 offset1:240
	s_and_saveexec_b64 s[4:5], s[0:1]
	s_cbranch_execz .LBB0_17
; %bb.16:
	ds_read_b32 v4, v19 offset:1792
	ds_read_b32 v7, v19 offset:4032
	s_waitcnt lgkmcnt(1)
	v_lshrrev_b32_e32 v5, 16, v4
	s_waitcnt lgkmcnt(0)
	v_lshrrev_b32_e32 v11, 16, v7
.LBB0_17:
	s_or_b64 exec, exec, s[4:5]
	v_and_b32_e32 v35, 7, v23
	v_lshlrev_b32_e32 v12, 2, v35
	global_load_dword v38, v12, s[14:15] offset:24
	s_movk_i32 s4, 0x1f0
	s_movk_i32 s5, 0x3f0
	s_waitcnt lgkmcnt(0)
	v_lshrrev_b32_e32 v13, 16, v2
	v_and_or_b32 v16, v6, s4, v35
	v_and_or_b32 v17, v29, s5, v35
	v_lshrrev_b32_e32 v15, 16, v3
	v_lshlrev_b32_e32 v41, 2, v16
	v_lshlrev_b32_e32 v40, 2, v17
	v_lshrrev_b32_e32 v12, 16, v0
	v_lshrrev_b32_e32 v14, 16, v1
	s_waitcnt vmcnt(0)
	s_barrier
	v_mul_f16_sdwa v16, v13, v38 dst_sel:DWORD dst_unused:UNUSED_PAD src0_sel:DWORD src1_sel:WORD_1
	v_mul_f16_sdwa v17, v2, v38 dst_sel:DWORD dst_unused:UNUSED_PAD src0_sel:DWORD src1_sel:WORD_1
	;; [unrolled: 1-line block ×6, first 2 shown]
	v_fma_f16 v2, v2, v38, -v16
	v_fma_f16 v13, v13, v38, v17
	v_fma_f16 v3, v3, v38, -v39
	v_fma_f16 v15, v15, v38, v42
	;; [unrolled: 2-line block ×3, first 2 shown]
	v_sub_f16_e32 v2, v0, v2
	v_sub_f16_e32 v13, v12, v13
	;; [unrolled: 1-line block ×6, first 2 shown]
	v_fma_f16 v0, v0, 2.0, -v2
	v_fma_f16 v12, v12, 2.0, -v13
	;; [unrolled: 1-line block ×6, first 2 shown]
	v_pack_b32_f16 v2, v2, v13
	v_pack_b32_f16 v0, v0, v12
	;; [unrolled: 1-line block ×4, first 2 shown]
	ds_write2_b32 v41, v0, v2 offset1:8
	ds_write2_b32 v40, v1, v3 offset1:8
	s_and_saveexec_b64 s[4:5], s[0:1]
	s_cbranch_execz .LBB0_19
; %bb.18:
	s_movk_i32 s12, 0x7f0
	v_and_or_b32 v0, v25, s12, v35
	s_mov_b32 s12, 0x5040100
	v_lshlrev_b32_e32 v0, 2, v0
	v_perm_b32 v1, v5, v4, s12
	v_perm_b32 v2, v11, v7, s12
	ds_write2_b32 v0, v1, v2 offset1:8
.LBB0_19:
	s_or_b64 exec, exec, s[4:5]
	v_add_u32_e32 v2, 0x880, v19
	s_waitcnt lgkmcnt(0)
	s_barrier
	ds_read2_b32 v[0:1], v19 offset1:224
	ds_read2_b32 v[2:3], v2 offset0:16 offset1:240
	s_and_saveexec_b64 s[4:5], s[0:1]
	s_cbranch_execz .LBB0_21
; %bb.20:
	ds_read_b32 v4, v19 offset:1792
	ds_read_b32 v7, v19 offset:4032
	s_waitcnt lgkmcnt(1)
	v_lshrrev_b32_e32 v5, 16, v4
	s_waitcnt lgkmcnt(0)
	v_lshrrev_b32_e32 v11, 16, v7
.LBB0_21:
	s_or_b64 exec, exec, s[4:5]
	v_and_b32_e32 v39, 15, v23
	v_lshlrev_b32_e32 v12, 2, v39
	global_load_dword v42, v12, s[14:15] offset:56
	s_movk_i32 s4, 0x1e0
	s_movk_i32 s5, 0x3e0
	s_waitcnt lgkmcnt(0)
	v_lshrrev_b32_e32 v13, 16, v2
	v_and_or_b32 v6, v6, s4, v39
	v_and_or_b32 v16, v29, s5, v39
	v_lshrrev_b32_e32 v15, 16, v3
	v_lshlrev_b32_e32 v44, 2, v6
	v_lshlrev_b32_e32 v43, 2, v16
	v_lshrrev_b32_e32 v12, 16, v0
	v_lshrrev_b32_e32 v14, 16, v1
	s_waitcnt vmcnt(0)
	s_barrier
	v_mul_f16_sdwa v6, v13, v42 dst_sel:DWORD dst_unused:UNUSED_PAD src0_sel:DWORD src1_sel:WORD_1
	v_mul_f16_sdwa v16, v2, v42 dst_sel:DWORD dst_unused:UNUSED_PAD src0_sel:DWORD src1_sel:WORD_1
	;; [unrolled: 1-line block ×5, first 2 shown]
	v_fma_f16 v2, v2, v42, -v6
	v_fma_f16 v6, v13, v42, v16
	v_mul_f16_sdwa v47, v7, v42 dst_sel:DWORD dst_unused:UNUSED_PAD src0_sel:DWORD src1_sel:WORD_1
	v_fma_f16 v3, v3, v42, -v17
	v_fma_f16 v13, v15, v42, v45
	v_fma_f16 v7, v7, v42, -v46
	v_sub_f16_e32 v2, v0, v2
	v_sub_f16_e32 v6, v12, v6
	v_fma_f16 v11, v11, v42, v47
	v_sub_f16_e32 v3, v1, v3
	v_sub_f16_e32 v15, v14, v13
	;; [unrolled: 1-line block ×3, first 2 shown]
	v_fma_f16 v0, v0, 2.0, -v2
	v_fma_f16 v7, v12, 2.0, -v6
	v_sub_f16_e32 v46, v5, v11
	v_fma_f16 v1, v1, 2.0, -v3
	v_fma_f16 v11, v14, 2.0, -v15
	v_pack_b32_f16 v2, v2, v6
	v_pack_b32_f16 v0, v0, v7
	;; [unrolled: 1-line block ×4, first 2 shown]
	ds_write2_b32 v44, v0, v2 offset1:16
	ds_write2_b32 v43, v1, v3 offset1:16
	s_and_saveexec_b64 s[4:5], s[0:1]
	s_cbranch_execz .LBB0_23
; %bb.22:
	s_movk_i32 s12, 0x7e0
	v_fma_f16 v0, v4, 2.0, -v13
	v_fma_f16 v1, v5, 2.0, -v46
	v_and_or_b32 v2, v25, s12, v39
	s_mov_b32 s12, 0x5040100
	v_lshlrev_b32_e32 v2, 2, v2
	v_pack_b32_f16 v0, v0, v1
	v_perm_b32 v1, v46, v13, s12
	ds_write2_b32 v2, v0, v1 offset1:16
.LBB0_23:
	s_or_b64 exec, exec, s[4:5]
	v_and_b32_e32 v45, 31, v23
	v_lshlrev_b32_e32 v0, 4, v45
	s_waitcnt lgkmcnt(0)
	s_barrier
	global_load_dwordx4 v[0:3], v0, s[14:15] offset:120
	v_add_u32_e32 v6, 0x700, v19
	ds_read2_b32 v[4:5], v19 offset1:224
	ds_read_b32 v11, v19 offset:3584
	ds_read2_b32 v[6:7], v6 offset1:224
	s_movk_i32 s4, 0x3b9c
	s_mov_b32 s16, 0xbb9c
	s_waitcnt lgkmcnt(2)
	v_lshrrev_b32_e32 v14, 16, v5
	s_waitcnt lgkmcnt(1)
	v_lshrrev_b32_e32 v15, 16, v11
	;; [unrolled: 2-line block ×3, first 2 shown]
	v_lshrrev_b32_e32 v17, 16, v7
	v_lshrrev_b32_e32 v12, 16, v4
	s_mov_b32 s17, 0xb8b4
	s_movk_i32 s5, 0x38b4
	s_movk_i32 s12, 0x34f2
	s_waitcnt vmcnt(0)
	s_barrier
	v_mul_f16_sdwa v47, v14, v0 dst_sel:DWORD dst_unused:UNUSED_PAD src0_sel:DWORD src1_sel:WORD_1
	v_mul_f16_sdwa v49, v16, v1 dst_sel:DWORD dst_unused:UNUSED_PAD src0_sel:DWORD src1_sel:WORD_1
	;; [unrolled: 1-line block ×8, first 2 shown]
	v_fma_f16 v5, v5, v0, -v47
	v_fma_f16 v6, v6, v1, -v49
	;; [unrolled: 1-line block ×4, first 2 shown]
	v_fma_f16 v14, v14, v0, v48
	v_fma_f16 v16, v16, v1, v50
	;; [unrolled: 1-line block ×4, first 2 shown]
	v_add_f16_e32 v47, v4, v5
	v_add_f16_e32 v48, v6, v7
	;; [unrolled: 1-line block ×3, first 2 shown]
	v_sub_f16_e32 v49, v14, v15
	v_sub_f16_e32 v50, v16, v17
	;; [unrolled: 1-line block ×6, first 2 shown]
	v_add_f16_e32 v56, v12, v14
	v_pack_b32_f16 v57, v11, v15
	v_add_f16_e32 v58, v16, v17
	v_sub_f16_e32 v5, v5, v11
	v_sub_f16_e32 v59, v6, v7
	;; [unrolled: 1-line block ×4, first 2 shown]
	v_add_f16_e32 v61, v14, v15
	v_sub_f16_e32 v14, v16, v14
	v_sub_f16_e32 v15, v17, v15
	v_add_f16_e32 v6, v47, v6
	v_fma_f16 v47, v48, -0.5, v4
	v_fma_f16 v4, v53, -0.5, v4
	v_add_f16_e32 v48, v51, v52
	v_add_f16_e32 v51, v54, v55
	;; [unrolled: 1-line block ×3, first 2 shown]
	v_fma_f16 v52, v58, -0.5, v12
	v_add_f16_e32 v54, v14, v15
	v_fma_f16 v14, v50, s16, v4
	v_fma_f16 v4, v50, s4, v4
	v_fma_f16 v53, v61, -0.5, v12
	v_add_f16_e32 v6, v6, v7
	v_fma_f16 v7, v49, s4, v47
	v_fma_f16 v12, v49, s16, v47
	v_add_f16_e32 v15, v16, v17
	v_fma_f16 v17, v5, s4, v52
	v_fma_f16 v4, v49, s17, v4
	;; [unrolled: 1-line block ×8, first 2 shown]
	v_add_f16_e32 v11, v11, v60
	v_fma_f16 v14, v49, s5, v14
	v_fma_f16 v49, v59, s17, v16
	;; [unrolled: 1-line block ×3, first 2 shown]
	v_pack_b32_f16 v6, v6, v15
	v_fma_f16 v15, v48, s12, v7
	v_fma_f16 v12, v48, s12, v12
	;; [unrolled: 1-line block ×5, first 2 shown]
	v_lshrrev_b32_e32 v4, 5, v23
	v_fma_f16 v47, v59, s4, v53
	v_mul_u32_u24_e32 v4, 0xa0, v4
	v_fma_f16 v47, v5, s17, v47
	v_or_b32_e32 v4, v4, v45
	v_fma_f16 v16, v51, s12, v14
	v_pk_add_f16 v14, v6, v57
	v_fma_f16 v51, v54, s12, v47
	v_lshlrev_b32_e32 v45, 2, v4
	v_pack_b32_f16 v4, v15, v48
	s_movk_i32 s4, 0xa0
	ds_write2_b32 v45, v14, v4 offset1:32
	v_pack_b32_f16 v4, v16, v51
	v_pack_b32_f16 v5, v17, v50
	ds_write2_b32 v45, v4, v5 offset0:64 offset1:96
	v_pack_b32_f16 v4, v12, v11
	v_cmp_gt_u16_e64 s[4:5], s4, v23
	ds_write_b32 v45, v4 offset:512
	s_waitcnt lgkmcnt(0)
	s_barrier
	s_waitcnt lgkmcnt(0)
                                        ; implicit-def: $vgpr47
                                        ; implicit-def: $vgpr49
	s_and_saveexec_b64 s[16:17], s[4:5]
	s_cbranch_execz .LBB0_25
; %bb.24:
	v_add_u32_e32 v4, 0x400, v19
	ds_read2_b32 v[16:17], v4 offset0:64 offset1:224
	v_add_u32_e32 v4, 0xa00, v19
	ds_read2_b32 v[14:15], v19 offset1:160
	ds_read2_b32 v[12:13], v4 offset1:160
	ds_read_b32 v47, v19 offset:3840
	s_waitcnt lgkmcnt(3)
	v_lshrrev_b32_e32 v51, 16, v16
	v_lshrrev_b32_e32 v50, 16, v17
	s_waitcnt lgkmcnt(2)
	v_lshrrev_b32_e32 v48, 16, v15
	s_waitcnt lgkmcnt(1)
	v_lshrrev_b32_e32 v11, 16, v12
	v_lshrrev_b32_e32 v46, 16, v13
	s_waitcnt lgkmcnt(0)
	v_lshrrev_b32_e32 v49, 16, v47
.LBB0_25:
	s_or_b64 exec, exec, s[16:17]
	v_add_u32_e32 v4, 0xffffff60, v23
	v_cndmask_b32_e64 v4, v4, v23, s[4:5]
	v_mul_hi_i32_i24_e32 v5, 24, v4
	v_mul_i32_i24_e32 v4, 24, v4
	v_add_co_u32_e32 v52, vcc, s14, v4
	v_mov_b32_e32 v4, s15
	v_addc_co_u32_e32 v53, vcc, v4, v5, vcc
	global_load_dwordx4 v[4:7], v[52:53], off offset:632
	s_mov_b32 s12, 0xffff
	s_movk_i32 s14, 0x3a52
	s_movk_i32 s16, 0x3b00
	;; [unrolled: 1-line block ×3, first 2 shown]
	s_waitcnt vmcnt(0)
	v_mul_f16_sdwa v54, v48, v4 dst_sel:DWORD dst_unused:UNUSED_PAD src0_sel:DWORD src1_sel:WORD_1
	v_fma_f16 v54, v15, v4, -v54
	v_mul_f16_sdwa v15, v15, v4 dst_sel:DWORD dst_unused:UNUSED_PAD src0_sel:DWORD src1_sel:WORD_1
	v_fma_f16 v15, v48, v4, v15
	v_mul_f16_sdwa v48, v51, v5 dst_sel:DWORD dst_unused:UNUSED_PAD src0_sel:DWORD src1_sel:WORD_1
	v_fma_f16 v48, v16, v5, -v48
	v_mul_f16_sdwa v16, v16, v5 dst_sel:DWORD dst_unused:UNUSED_PAD src0_sel:DWORD src1_sel:WORD_1
	v_fma_f16 v16, v51, v5, v16
	;; [unrolled: 4-line block ×4, first 2 shown]
	global_load_dwordx2 v[11:12], v[52:53], off offset:648
	v_pack_b32_f16 v15, v54, v15
	v_pack_b32_f16 v16, v48, v16
	s_waitcnt vmcnt(0)
	v_mul_f16_sdwa v52, v46, v11 dst_sel:DWORD dst_unused:UNUSED_PAD src0_sel:DWORD src1_sel:WORD_1
	v_fma_f16 v52, v13, v11, -v52
	v_mul_f16_sdwa v13, v13, v11 dst_sel:DWORD dst_unused:UNUSED_PAD src0_sel:DWORD src1_sel:WORD_1
	v_fma_f16 v13, v46, v11, v13
	v_mul_f16_sdwa v46, v49, v12 dst_sel:DWORD dst_unused:UNUSED_PAD src0_sel:DWORD src1_sel:WORD_1
	v_fma_f16 v46, v47, v12, -v46
	v_mul_f16_sdwa v47, v47, v12 dst_sel:DWORD dst_unused:UNUSED_PAD src0_sel:DWORD src1_sel:WORD_1
	v_fma_f16 v47, v49, v12, v47
	v_pack_b32_f16 v46, v46, v47
	v_pack_b32_f16 v13, v52, v13
	v_pk_add_f16 v47, v15, v46
	v_pk_add_f16 v15, v15, v46 neg_lo:[0,1] neg_hi:[0,1]
	v_pk_add_f16 v46, v16, v13
	v_pk_add_f16 v13, v16, v13 neg_lo:[0,1] neg_hi:[0,1]
	v_pack_b32_f16 v16, v51, v17
	v_pack_b32_f16 v17, v50, v55
	v_pk_add_f16 v48, v16, v17
	v_pk_add_f16 v16, v17, v16 neg_lo:[0,1] neg_hi:[0,1]
	v_pk_add_f16 v17, v46, v47
	v_pk_add_f16 v50, v16, v13 op_sel:[1,1] op_sel_hi:[0,0]
	v_pk_add_f16 v51, v16, v13 op_sel:[1,1] op_sel_hi:[0,0] neg_lo:[0,1] neg_hi:[0,1]
	v_pk_add_f16 v52, v13, v15 op_sel:[1,1] op_sel_hi:[0,0] neg_lo:[0,1] neg_hi:[0,1]
	v_bfi_b32 v13, s12, v17, v48
	v_bfi_b32 v17, s12, v48, v17
	v_pk_add_f16 v49, v46, v47 neg_lo:[0,1] neg_hi:[0,1]
	v_pk_add_f16 v47, v47, v48 neg_lo:[0,1] neg_hi:[0,1]
	v_pk_add_f16 v17, v13, v17
	v_pk_add_f16 v46, v48, v46 neg_lo:[0,1] neg_hi:[0,1]
	v_pk_add_f16 v16, v15, v16 op_sel:[1,1] op_sel_hi:[0,0] neg_lo:[0,1] neg_hi:[0,1]
	v_pk_add_f16 v15, v50, v15 op_sel:[0,1] op_sel_hi:[1,0]
	v_pk_add_f16 v13, v14, v17
	v_pk_mul_f16 v14, v47, s14 op_sel_hi:[1,0]
	s_movk_i32 s14, 0x2b26
	v_pk_mul_f16 v50, v52, s16 op_sel_hi:[1,0]
	s_mov_b32 s16, 0xbcab
	v_pk_mul_f16 v47, v46, s14 op_sel_hi:[1,0]
	v_pk_fma_f16 v17, v17, s16, v13 op_sel_hi:[1,0,1]
	s_movk_i32 s16, 0x39e0
	v_pk_mul_f16 v48, v16, s15 op_sel_hi:[1,0]
	v_pk_fma_f16 v47, v49, s16, v47 op_sel_hi:[1,0,1] neg_lo:[0,0,1] neg_hi:[0,0,1]
	v_pk_fma_f16 v49, v49, s16, v14 op_sel_hi:[1,0,1] neg_lo:[1,0,1] neg_hi:[1,0,1]
	s_mov_b32 s16, 0xb846
	v_pk_fma_f16 v52, v51, s16, v50 op_sel_hi:[1,0,1] neg_lo:[1,0,0] neg_hi:[1,0,0]
	v_pk_fma_f16 v16, v16, s15, v50 op_sel_hi:[1,0,1] neg_lo:[1,0,1] neg_hi:[1,0,1]
	v_pk_fma_f16 v14, v46, s14, v14 op_sel_hi:[1,0,1]
	v_pk_fma_f16 v46, v51, s16, v48 op_sel_hi:[1,0,1]
	s_movk_i32 s14, 0x370e
	v_pk_add_f16 v47, v47, v17
	v_pk_add_f16 v49, v49, v17
	;; [unrolled: 1-line block ×3, first 2 shown]
	v_pk_fma_f16 v51, v15, s14, v46 op_sel_hi:[1,0,1]
	v_pk_fma_f16 v17, v15, s14, v52 op_sel_hi:[1,0,1]
	;; [unrolled: 1-line block ×3, first 2 shown]
	v_pk_add_f16 v14, v47, v17
	v_pk_add_f16 v15, v47, v17 neg_lo:[0,1] neg_hi:[0,1]
	v_pk_add_f16 v16, v49, v46 neg_lo:[0,1] neg_hi:[0,1]
	v_pk_add_f16 v49, v49, v46
	v_bfi_b32 v17, s12, v14, v15
	v_bfi_b32 v48, s12, v16, v49
	v_pk_add_f16 v46, v50, v51 neg_lo:[0,1] neg_hi:[0,1]
	v_pk_add_f16 v47, v50, v51
	s_and_saveexec_b64 s[14:15], s[4:5]
	s_cbranch_execz .LBB0_27
; %bb.26:
	v_bfi_b32 v51, s12, v47, v46
	ds_write2_b32 v19, v13, v51 offset1:160
	v_bfi_b32 v13, s12, v49, v16
	v_bfi_b32 v14, s12, v15, v14
	v_add_u32_e32 v15, 0x400, v19
	ds_write2_b32 v15, v13, v14 offset0:64 offset1:224
	v_add_u32_e32 v13, 0xa00, v19
	v_bfi_b32 v50, s12, v46, v47
	ds_write2_b32 v13, v17, v48 offset1:160
	ds_write_b32 v19, v50 offset:3840
.LBB0_27:
	s_or_b64 exec, exec, s[14:15]
	v_mov_b32_e32 v13, s13
	v_addc_co_u32_e64 v16, vcc, 0, v13, s[2:3]
	v_add_co_u32_e32 v13, vcc, 0x1180, v8
	v_addc_co_u32_e32 v14, vcc, 0, v16, vcc
	v_add_co_u32_e32 v15, vcc, 0x1000, v8
	v_addc_co_u32_e32 v16, vcc, 0, v16, vcc
	s_waitcnt lgkmcnt(0)
	s_barrier
	global_load_dword v50, v[15:16], off offset:384
	global_load_dword v52, v[13:14], off offset:3136
	;; [unrolled: 1-line block ×4, first 2 shown]
	ds_read2_b32 v[15:16], v19 offset1:224
	v_add_u32_e32 v49, 0x880, v19
	s_waitcnt lgkmcnt(0)
	v_lshrrev_b32_e32 v51, 16, v15
	v_lshrrev_b32_e32 v55, 16, v16
	s_waitcnt vmcnt(3)
	v_mul_f16_sdwa v56, v51, v50 dst_sel:DWORD dst_unused:UNUSED_PAD src0_sel:DWORD src1_sel:WORD_1
	v_mul_f16_sdwa v57, v15, v50 dst_sel:DWORD dst_unused:UNUSED_PAD src0_sel:DWORD src1_sel:WORD_1
	v_fma_f16 v15, v15, v50, -v56
	v_fma_f16 v50, v51, v50, v57
	v_pack_b32_f16 v15, v15, v50
	ds_write_b32 v19, v15
	ds_read2_b32 v[50:51], v49 offset0:16 offset1:240
	s_waitcnt vmcnt(1)
	v_mul_f16_sdwa v58, v55, v53 dst_sel:DWORD dst_unused:UNUSED_PAD src0_sel:DWORD src1_sel:WORD_1
	v_mul_f16_sdwa v59, v16, v53 dst_sel:DWORD dst_unused:UNUSED_PAD src0_sel:DWORD src1_sel:WORD_1
	v_fma_f16 v15, v16, v53, -v58
	v_fma_f16 v16, v55, v53, v59
	v_pack_b32_f16 v15, v15, v16
	ds_write_b32 v19, v15 offset:896
	s_waitcnt lgkmcnt(1)
	v_lshrrev_b32_e32 v15, 16, v50
	s_waitcnt vmcnt(0)
	v_mul_f16_sdwa v16, v50, v54 dst_sel:DWORD dst_unused:UNUSED_PAD src0_sel:DWORD src1_sel:WORD_1
	v_lshrrev_b32_e32 v53, 16, v51
	v_mul_f16_sdwa v55, v51, v52 dst_sel:DWORD dst_unused:UNUSED_PAD src0_sel:DWORD src1_sel:WORD_1
	v_mul_f16_sdwa v56, v15, v54 dst_sel:DWORD dst_unused:UNUSED_PAD src0_sel:DWORD src1_sel:WORD_1
	v_fma_f16 v15, v15, v54, v16
	v_mul_f16_sdwa v16, v53, v52 dst_sel:DWORD dst_unused:UNUSED_PAD src0_sel:DWORD src1_sel:WORD_1
	v_fma_f16 v53, v53, v52, v55
	v_fma_f16 v50, v50, v54, -v56
	v_fma_f16 v16, v51, v52, -v16
	v_pack_b32_f16 v15, v50, v15
	v_pack_b32_f16 v16, v16, v53
	ds_write2_b32 v49, v15, v16 offset0:16 offset1:240
	s_and_saveexec_b64 s[2:3], s[0:1]
	s_cbranch_execz .LBB0_29
; %bb.28:
	global_load_dword v15, v[13:14], off offset:1792
	global_load_dword v16, v[13:14], off offset:4032
	ds_read_b32 v13, v19 offset:1792
	ds_read_b32 v14, v19 offset:4032
	s_waitcnt lgkmcnt(1)
	v_lshrrev_b32_e32 v50, 16, v13
	s_waitcnt lgkmcnt(0)
	v_lshrrev_b32_e32 v51, 16, v14
	s_waitcnt vmcnt(1)
	v_mul_f16_sdwa v52, v50, v15 dst_sel:DWORD dst_unused:UNUSED_PAD src0_sel:DWORD src1_sel:WORD_1
	v_mul_f16_sdwa v53, v13, v15 dst_sel:DWORD dst_unused:UNUSED_PAD src0_sel:DWORD src1_sel:WORD_1
	s_waitcnt vmcnt(0)
	v_mul_f16_sdwa v54, v51, v16 dst_sel:DWORD dst_unused:UNUSED_PAD src0_sel:DWORD src1_sel:WORD_1
	v_mul_f16_sdwa v55, v14, v16 dst_sel:DWORD dst_unused:UNUSED_PAD src0_sel:DWORD src1_sel:WORD_1
	v_fma_f16 v13, v13, v15, -v52
	v_fma_f16 v15, v50, v15, v53
	v_fma_f16 v14, v14, v16, -v54
	v_fma_f16 v16, v51, v16, v55
	v_pack_b32_f16 v13, v13, v15
	v_pack_b32_f16 v14, v14, v16
	ds_write_b32 v19, v13 offset:1792
	ds_write_b32 v19, v14 offset:4032
.LBB0_29:
	s_or_b64 exec, exec, s[2:3]
	s_waitcnt lgkmcnt(0)
	s_barrier
	ds_read2_b32 v[15:16], v19 offset1:224
	ds_read2_b32 v[13:14], v49 offset0:16 offset1:240
	v_lshlrev_b32_e32 v29, 2, v29
	s_and_saveexec_b64 s[2:3], s[0:1]
	s_cbranch_execz .LBB0_31
; %bb.30:
	ds_read_b32 v17, v19 offset:1792
	ds_read_b32 v48, v19 offset:4032
.LBB0_31:
	s_or_b64 exec, exec, s[2:3]
	s_waitcnt lgkmcnt(0)
	v_pk_add_f16 v49, v15, v13 neg_lo:[0,1] neg_hi:[0,1]
	v_pk_add_f16 v50, v16, v14 neg_lo:[0,1] neg_hi:[0,1]
	;; [unrolled: 1-line block ×3, first 2 shown]
	v_pk_fma_f16 v48, v15, 2.0, v49 op_sel_hi:[1,0,1] neg_lo:[0,0,1] neg_hi:[0,0,1]
	v_pk_fma_f16 v13, v17, 2.0, v14 op_sel_hi:[1,0,1] neg_lo:[0,0,1] neg_hi:[0,0,1]
	s_barrier
	ds_write_b64 v28, v[48:49]
	v_pk_fma_f16 v49, v16, 2.0, v50 op_sel_hi:[1,0,1] neg_lo:[0,0,1] neg_hi:[0,0,1]
	ds_write_b64 v29, v[49:50]
	s_and_saveexec_b64 s[2:3], s[0:1]
	s_cbranch_execz .LBB0_33
; %bb.32:
	ds_write_b64 v18, v[13:14]
.LBB0_33:
	s_or_b64 exec, exec, s[2:3]
	v_add_u32_e32 v17, 0x880, v19
	s_waitcnt lgkmcnt(0)
	s_barrier
	ds_read2_b32 v[15:16], v19 offset1:224
	ds_read2_b32 v[17:18], v17 offset0:16 offset1:240
	s_and_saveexec_b64 s[2:3], s[0:1]
	s_cbranch_execz .LBB0_35
; %bb.34:
	ds_read_b32 v13, v19 offset:1792
	ds_read_b32 v14, v19 offset:4032
.LBB0_35:
	s_or_b64 exec, exec, s[2:3]
	s_waitcnt lgkmcnt(0)
	v_lshrrev_b32_e32 v29, 16, v17
	v_mul_f16_e32 v50, v33, v29
	v_lshrrev_b32_e32 v49, 16, v18
	v_fma_f16 v50, v27, v17, v50
	v_mul_f16_e32 v17, v33, v17
	v_fma_f16 v17, v27, v29, -v17
	v_mul_f16_e32 v29, v33, v49
	v_lshrrev_b32_e32 v28, 16, v15
	v_fma_f16 v29, v27, v18, v29
	v_mul_f16_e32 v18, v33, v18
	v_pk_mul_f16 v33, v27, v14 op_sel:[0,1]
	v_fma_f16 v18, v27, v49, -v18
	v_sub_f16_e32 v49, v15, v50
	v_sub_f16_e32 v50, v28, v17
	v_pk_fma_f16 v17, v27, v14, v33 op_sel:[0,0,1] op_sel_hi:[1,1,0]
	v_pk_fma_f16 v14, v27, v14, v33 op_sel:[0,0,1] op_sel_hi:[1,0,0] neg_lo:[1,0,0] neg_hi:[1,0,0]
	s_mov_b32 s2, 0xffff
	v_lshrrev_b32_e32 v48, 16, v16
	v_bfi_b32 v14, s2, v17, v14
	v_fma_f16 v15, v15, 2.0, -v49
	v_fma_f16 v28, v28, 2.0, -v50
	v_sub_f16_e32 v29, v16, v29
	v_sub_f16_e32 v51, v48, v18
	v_pk_add_f16 v18, v13, v14 neg_lo:[0,1] neg_hi:[0,1]
	v_fma_f16 v16, v16, 2.0, -v29
	v_fma_f16 v48, v48, 2.0, -v51
	v_pk_fma_f16 v17, v13, 2.0, v18 op_sel_hi:[1,0,1] neg_lo:[0,0,1] neg_hi:[0,0,1]
	v_pack_b32_f16 v13, v15, v28
	v_pack_b32_f16 v14, v49, v50
	s_barrier
	ds_write2_b32 v31, v13, v14 offset1:2
	v_pack_b32_f16 v13, v16, v48
	v_pack_b32_f16 v14, v29, v51
	ds_write2_b32 v30, v13, v14 offset1:2
	s_and_saveexec_b64 s[2:3], s[0:1]
	s_cbranch_execz .LBB0_37
; %bb.36:
	s_movk_i32 s12, 0x7fc
	v_and_or_b32 v13, v25, s12, v26
	v_lshlrev_b32_e32 v13, 2, v13
	ds_write2_b32 v13, v17, v18 offset1:2
.LBB0_37:
	s_or_b64 exec, exec, s[2:3]
	v_add_u32_e32 v15, 0x880, v19
	s_waitcnt lgkmcnt(0)
	s_barrier
	ds_read2_b32 v[13:14], v19 offset1:224
	ds_read2_b32 v[15:16], v15 offset0:16 offset1:240
	s_and_saveexec_b64 s[2:3], s[0:1]
	s_cbranch_execz .LBB0_39
; %bb.38:
	ds_read_b32 v17, v19 offset:1792
	ds_read_b32 v18, v19 offset:4032
.LBB0_39:
	s_or_b64 exec, exec, s[2:3]
	s_waitcnt lgkmcnt(0)
	v_lshrrev_b32_e32 v27, 16, v15
	v_mul_f16_sdwa v30, v34, v27 dst_sel:DWORD dst_unused:UNUSED_PAD src0_sel:WORD_1 src1_sel:DWORD
	v_lshrrev_b32_e32 v29, 16, v16
	v_fma_f16 v30, v34, v15, v30
	v_mul_f16_sdwa v15, v34, v15 dst_sel:DWORD dst_unused:UNUSED_PAD src0_sel:WORD_1 src1_sel:DWORD
	v_fma_f16 v15, v34, v27, -v15
	v_mul_f16_sdwa v27, v34, v29 dst_sel:DWORD dst_unused:UNUSED_PAD src0_sel:WORD_1 src1_sel:DWORD
	v_fma_f16 v27, v34, v16, v27
	v_mul_f16_sdwa v16, v34, v16 dst_sel:DWORD dst_unused:UNUSED_PAD src0_sel:WORD_1 src1_sel:DWORD
	v_fma_f16 v16, v34, v29, -v16
	v_lshrrev_b32_e32 v29, 16, v18
	v_mul_f16_sdwa v31, v34, v29 dst_sel:DWORD dst_unused:UNUSED_PAD src0_sel:WORD_1 src1_sel:DWORD
	v_lshrrev_b32_e32 v26, 16, v13
	v_fma_f16 v31, v34, v18, v31
	v_mul_f16_sdwa v18, v34, v18 dst_sel:DWORD dst_unused:UNUSED_PAD src0_sel:WORD_1 src1_sel:DWORD
	v_lshrrev_b32_e32 v28, 16, v14
	v_fma_f16 v18, v34, v29, -v18
	v_sub_f16_e32 v29, v13, v30
	v_sub_f16_e32 v15, v26, v15
	v_fma_f16 v13, v13, 2.0, -v29
	v_fma_f16 v30, v26, 2.0, -v15
	v_sub_f16_e32 v33, v14, v27
	v_sub_f16_e32 v16, v28, v16
	;; [unrolled: 1-line block ×3, first 2 shown]
	v_lshrrev_b32_e32 v31, 16, v17
	v_fma_f16 v14, v14, 2.0, -v33
	v_fma_f16 v28, v28, 2.0, -v16
	v_sub_f16_e32 v27, v31, v18
	v_pack_b32_f16 v13, v13, v30
	v_pack_b32_f16 v15, v29, v15
	v_fma_f16 v17, v17, 2.0, -v26
	v_fma_f16 v18, v31, 2.0, -v27
	s_barrier
	ds_write2_b32 v37, v13, v15 offset1:4
	v_pack_b32_f16 v13, v14, v28
	v_pack_b32_f16 v14, v33, v16
	ds_write2_b32 v36, v13, v14 offset1:4
	s_and_saveexec_b64 s[2:3], s[0:1]
	s_cbranch_execz .LBB0_41
; %bb.40:
	s_movk_i32 s12, 0x7f8
	v_and_or_b32 v13, v25, s12, v32
	s_mov_b32 s12, 0x5040100
	v_lshlrev_b32_e32 v13, 2, v13
	v_perm_b32 v14, v18, v17, s12
	v_perm_b32 v15, v27, v26, s12
	ds_write2_b32 v13, v14, v15 offset1:4
.LBB0_41:
	s_or_b64 exec, exec, s[2:3]
	v_add_u32_e32 v15, 0x880, v19
	s_waitcnt lgkmcnt(0)
	s_barrier
	ds_read2_b32 v[13:14], v19 offset1:224
	ds_read2_b32 v[15:16], v15 offset0:16 offset1:240
	s_and_saveexec_b64 s[2:3], s[0:1]
	s_cbranch_execz .LBB0_43
; %bb.42:
	ds_read_b32 v17, v19 offset:1792
	ds_read_b32 v26, v19 offset:4032
	s_waitcnt lgkmcnt(1)
	v_lshrrev_b32_e32 v18, 16, v17
	s_waitcnt lgkmcnt(0)
	v_lshrrev_b32_e32 v27, 16, v26
.LBB0_43:
	s_or_b64 exec, exec, s[2:3]
	s_waitcnt lgkmcnt(0)
	v_lshrrev_b32_e32 v29, 16, v15
	v_mul_f16_sdwa v32, v38, v29 dst_sel:DWORD dst_unused:UNUSED_PAD src0_sel:WORD_1 src1_sel:DWORD
	v_lshrrev_b32_e32 v31, 16, v16
	v_fma_f16 v32, v38, v15, v32
	v_mul_f16_sdwa v15, v38, v15 dst_sel:DWORD dst_unused:UNUSED_PAD src0_sel:WORD_1 src1_sel:DWORD
	v_fma_f16 v15, v38, v29, -v15
	v_mul_f16_sdwa v29, v38, v31 dst_sel:DWORD dst_unused:UNUSED_PAD src0_sel:WORD_1 src1_sel:DWORD
	v_fma_f16 v29, v38, v16, v29
	v_mul_f16_sdwa v16, v38, v16 dst_sel:DWORD dst_unused:UNUSED_PAD src0_sel:WORD_1 src1_sel:DWORD
	v_lshrrev_b32_e32 v28, 16, v13
	v_fma_f16 v16, v38, v31, -v16
	v_mul_f16_sdwa v31, v38, v27 dst_sel:DWORD dst_unused:UNUSED_PAD src0_sel:WORD_1 src1_sel:DWORD
	v_lshrrev_b32_e32 v30, 16, v14
	v_fma_f16 v31, v38, v26, v31
	v_mul_f16_sdwa v26, v38, v26 dst_sel:DWORD dst_unused:UNUSED_PAD src0_sel:WORD_1 src1_sel:DWORD
	v_sub_f16_e32 v32, v13, v32
	v_sub_f16_e32 v15, v28, v15
	v_fma_f16 v27, v38, v27, -v26
	v_fma_f16 v13, v13, 2.0, -v32
	v_fma_f16 v28, v28, 2.0, -v15
	v_sub_f16_e32 v29, v14, v29
	v_sub_f16_e32 v16, v30, v16
	v_fma_f16 v14, v14, 2.0, -v29
	v_fma_f16 v30, v30, 2.0, -v16
	v_sub_f16_e32 v26, v17, v31
	v_sub_f16_e32 v27, v18, v27
	v_pack_b32_f16 v13, v13, v28
	v_pack_b32_f16 v15, v32, v15
	v_fma_f16 v17, v17, 2.0, -v26
	v_fma_f16 v18, v18, 2.0, -v27
	s_barrier
	ds_write2_b32 v41, v13, v15 offset1:8
	v_pack_b32_f16 v13, v14, v30
	v_pack_b32_f16 v14, v29, v16
	ds_write2_b32 v40, v13, v14 offset1:8
	s_and_saveexec_b64 s[2:3], s[0:1]
	s_cbranch_execz .LBB0_45
; %bb.44:
	s_movk_i32 s12, 0x7f0
	v_and_or_b32 v13, v25, s12, v35
	s_mov_b32 s12, 0x5040100
	v_lshlrev_b32_e32 v13, 2, v13
	v_perm_b32 v14, v18, v17, s12
	v_perm_b32 v15, v27, v26, s12
	ds_write2_b32 v13, v14, v15 offset1:8
.LBB0_45:
	s_or_b64 exec, exec, s[2:3]
	v_add_u32_e32 v15, 0x880, v19
	s_waitcnt lgkmcnt(0)
	s_barrier
	ds_read2_b32 v[13:14], v19 offset1:224
	ds_read2_b32 v[15:16], v15 offset0:16 offset1:240
	s_and_saveexec_b64 s[2:3], s[0:1]
	s_cbranch_execz .LBB0_47
; %bb.46:
	ds_read_b32 v17, v19 offset:1792
	ds_read_b32 v26, v19 offset:4032
	s_waitcnt lgkmcnt(1)
	v_lshrrev_b32_e32 v18, 16, v17
	s_waitcnt lgkmcnt(0)
	v_lshrrev_b32_e32 v27, 16, v26
.LBB0_47:
	s_or_b64 exec, exec, s[2:3]
	s_waitcnt lgkmcnt(0)
	v_lshrrev_b32_e32 v29, 16, v15
	v_mul_f16_sdwa v32, v42, v29 dst_sel:DWORD dst_unused:UNUSED_PAD src0_sel:WORD_1 src1_sel:DWORD
	v_lshrrev_b32_e32 v31, 16, v16
	v_fma_f16 v32, v42, v15, v32
	v_mul_f16_sdwa v15, v42, v15 dst_sel:DWORD dst_unused:UNUSED_PAD src0_sel:WORD_1 src1_sel:DWORD
	v_fma_f16 v15, v42, v29, -v15
	v_mul_f16_sdwa v29, v42, v31 dst_sel:DWORD dst_unused:UNUSED_PAD src0_sel:WORD_1 src1_sel:DWORD
	v_fma_f16 v29, v42, v16, v29
	v_mul_f16_sdwa v16, v42, v16 dst_sel:DWORD dst_unused:UNUSED_PAD src0_sel:WORD_1 src1_sel:DWORD
	v_fma_f16 v16, v42, v31, -v16
	v_mul_f16_sdwa v31, v42, v27 dst_sel:DWORD dst_unused:UNUSED_PAD src0_sel:WORD_1 src1_sel:DWORD
	v_lshrrev_b32_e32 v28, 16, v13
	v_fma_f16 v31, v42, v26, v31
	v_mul_f16_sdwa v26, v42, v26 dst_sel:DWORD dst_unused:UNUSED_PAD src0_sel:WORD_1 src1_sel:DWORD
	v_lshrrev_b32_e32 v30, 16, v14
	v_fma_f16 v26, v42, v27, -v26
	v_sub_f16_e32 v27, v13, v32
	v_sub_f16_e32 v32, v28, v15
	v_fma_f16 v13, v13, 2.0, -v27
	v_fma_f16 v28, v28, 2.0, -v32
	v_sub_f16_e32 v29, v14, v29
	v_sub_f16_e32 v16, v30, v16
	v_fma_f16 v33, v14, 2.0, -v29
	v_fma_f16 v30, v30, 2.0, -v16
	v_sub_f16_e32 v15, v18, v26
	v_pack_b32_f16 v13, v13, v28
	v_pack_b32_f16 v26, v27, v32
	v_sub_f16_e32 v14, v17, v31
	s_barrier
	ds_write2_b32 v44, v13, v26 offset1:16
	v_pack_b32_f16 v13, v33, v30
	v_pack_b32_f16 v16, v29, v16
	ds_write2_b32 v43, v13, v16 offset1:16
	s_and_saveexec_b64 s[2:3], s[0:1]
	s_cbranch_execz .LBB0_49
; %bb.48:
	s_movk_i32 s12, 0x7e0
	v_fma_f16 v13, v17, 2.0, -v14
	v_fma_f16 v16, v18, 2.0, -v15
	v_and_or_b32 v17, v25, s12, v39
	s_mov_b32 s12, 0x5040100
	v_lshlrev_b32_e32 v17, 2, v17
	v_pack_b32_f16 v13, v13, v16
	v_perm_b32 v16, v15, v14, s12
	ds_write2_b32 v17, v13, v16 offset1:16
.LBB0_49:
	s_or_b64 exec, exec, s[2:3]
	s_waitcnt lgkmcnt(0)
	s_barrier
	ds_read2_b32 v[16:17], v19 offset1:224
	v_add_u32_e32 v13, 0x700, v19
	ds_read2_b32 v[25:26], v13 offset1:224
	ds_read_b32 v13, v19 offset:3584
	s_mov_b32 s2, 0xbb9c
	s_movk_i32 s13, 0x3b9c
	s_waitcnt lgkmcnt(2)
	v_lshrrev_b32_e32 v27, 16, v17
	v_mul_f16_sdwa v31, v0, v27 dst_sel:DWORD dst_unused:UNUSED_PAD src0_sel:WORD_1 src1_sel:DWORD
	s_waitcnt lgkmcnt(1)
	v_lshrrev_b32_e32 v28, 16, v25
	v_fma_f16 v31, v0, v17, v31
	v_mul_f16_sdwa v17, v0, v17 dst_sel:DWORD dst_unused:UNUSED_PAD src0_sel:WORD_1 src1_sel:DWORD
	v_fma_f16 v27, v0, v27, -v17
	v_mul_f16_sdwa v0, v1, v28 dst_sel:DWORD dst_unused:UNUSED_PAD src0_sel:WORD_1 src1_sel:DWORD
	v_lshrrev_b32_e32 v29, 16, v26
	v_fma_f16 v17, v1, v25, v0
	v_mul_f16_sdwa v0, v1, v25 dst_sel:DWORD dst_unused:UNUSED_PAD src0_sel:WORD_1 src1_sel:DWORD
	v_fma_f16 v28, v1, v28, -v0
	v_mul_f16_sdwa v0, v2, v29 dst_sel:DWORD dst_unused:UNUSED_PAD src0_sel:WORD_1 src1_sel:DWORD
	s_waitcnt lgkmcnt(0)
	v_lshrrev_b32_e32 v30, 16, v13
	v_fma_f16 v25, v2, v26, v0
	v_mul_f16_sdwa v0, v2, v26 dst_sel:DWORD dst_unused:UNUSED_PAD src0_sel:WORD_1 src1_sel:DWORD
	v_fma_f16 v26, v2, v29, -v0
	v_mul_f16_sdwa v0, v3, v30 dst_sel:DWORD dst_unused:UNUSED_PAD src0_sel:WORD_1 src1_sel:DWORD
	v_fma_f16 v29, v3, v13, v0
	v_mul_f16_sdwa v0, v3, v13 dst_sel:DWORD dst_unused:UNUSED_PAD src0_sel:WORD_1 src1_sel:DWORD
	v_fma_f16 v30, v3, v30, -v0
	v_add_f16_e32 v1, v17, v25
	v_fma_f16 v2, v1, -0.5, v16
	v_sub_f16_e32 v3, v27, v30
	v_fma_f16 v1, v3, s2, v2
	v_sub_f16_e32 v32, v28, v26
	s_mov_b32 s3, 0xb8b4
	v_sub_f16_e32 v13, v31, v17
	v_sub_f16_e32 v33, v29, v25
	v_fma_f16 v2, v3, s13, v2
	s_movk_i32 s14, 0x38b4
	v_fma_f16 v1, v32, s3, v1
	v_add_f16_e32 v13, v13, v33
	s_movk_i32 s12, 0x34f2
	v_fma_f16 v2, v32, s14, v2
	v_add_f16_e32 v0, v16, v31
	v_fma_f16 v1, v13, s12, v1
	v_fma_f16 v13, v13, s12, v2
	v_add_f16_e32 v2, v31, v29
	v_lshrrev_b32_e32 v18, 16, v16
	v_add_f16_e32 v0, v0, v17
	v_fma_f16 v16, v2, -0.5, v16
	v_add_f16_e32 v0, v0, v25
	v_fma_f16 v2, v32, s13, v16
	v_sub_f16_e32 v33, v17, v31
	v_sub_f16_e32 v34, v25, v29
	v_fma_f16 v16, v32, s2, v16
	v_add_f16_e32 v32, v28, v26
	v_add_f16_e32 v0, v0, v29
	v_fma_f16 v2, v3, s3, v2
	v_add_f16_e32 v33, v33, v34
	v_fma_f16 v3, v3, s14, v16
	v_fma_f16 v32, v32, -0.5, v18
	v_sub_f16_e32 v29, v31, v29
	v_fma_f16 v2, v33, s12, v2
	v_fma_f16 v3, v33, s12, v3
	;; [unrolled: 1-line block ×3, first 2 shown]
	v_sub_f16_e32 v33, v17, v25
	v_fma_f16 v17, v33, s14, v31
	v_sub_f16_e32 v25, v27, v28
	v_sub_f16_e32 v31, v30, v26
	v_add_f16_e32 v25, v25, v31
	v_fma_f16 v31, v29, s2, v32
	v_add_f16_e32 v16, v18, v27
	v_fma_f16 v31, v33, s3, v31
	v_add_f16_e32 v16, v16, v28
	v_fma_f16 v17, v25, s12, v17
	v_fma_f16 v25, v25, s12, v31
	v_add_f16_e32 v31, v27, v30
	v_add_f16_e32 v16, v16, v26
	v_fma_f16 v31, v31, -0.5, v18
	v_sub_f16_e32 v27, v28, v27
	v_sub_f16_e32 v26, v26, v30
	v_fma_f16 v18, v33, s2, v31
	v_add_f16_e32 v26, v27, v26
	v_fma_f16 v27, v33, s13, v31
	v_add_f16_e32 v16, v16, v30
	v_fma_f16 v18, v29, s14, v18
	v_fma_f16 v27, v29, s3, v27
	;; [unrolled: 1-line block ×4, first 2 shown]
	v_pack_b32_f16 v27, v0, v16
	v_pack_b32_f16 v28, v1, v17
	s_barrier
	ds_write2_b32 v45, v27, v28 offset1:32
	v_pack_b32_f16 v27, v2, v18
	v_pack_b32_f16 v28, v3, v26
	ds_write2_b32 v45, v27, v28 offset0:64 offset1:96
	v_pack_b32_f16 v27, v13, v25
	ds_write_b32 v45, v27 offset:512
	v_lshrrev_b32_e32 v27, 16, v47
	s_waitcnt lgkmcnt(0)
	s_barrier
	s_and_saveexec_b64 s[2:3], s[4:5]
	s_cbranch_execz .LBB0_51
; %bb.50:
	v_add_u32_e32 v2, 0x400, v19
	v_add_u32_e32 v13, 0xa00, v19
	ds_read2_b32 v[0:1], v19 offset1:160
	ds_read2_b32 v[2:3], v2 offset0:64 offset1:224
	ds_read2_b32 v[13:14], v13 offset1:160
	ds_read_b32 v46, v19 offset:3840
	s_waitcnt lgkmcnt(3)
	v_lshrrev_b32_e32 v16, 16, v0
	v_lshrrev_b32_e32 v17, 16, v1
	s_waitcnt lgkmcnt(2)
	v_lshrrev_b32_e32 v18, 16, v2
	v_lshrrev_b32_e32 v26, 16, v3
	;; [unrolled: 3-line block ×3, first 2 shown]
	s_waitcnt lgkmcnt(0)
	v_lshrrev_b32_e32 v27, 16, v46
.LBB0_51:
	s_or_b64 exec, exec, s[2:3]
	s_and_saveexec_b64 s[2:3], s[4:5]
	s_cbranch_execz .LBB0_53
; %bb.52:
	v_mul_f16_sdwa v32, v6, v26 dst_sel:DWORD dst_unused:UNUSED_PAD src0_sel:WORD_1 src1_sel:DWORD
	v_mul_f16_sdwa v28, v4, v17 dst_sel:DWORD dst_unused:UNUSED_PAD src0_sel:WORD_1 src1_sel:DWORD
	v_fma_f16 v32, v6, v3, v32
	v_mul_f16_sdwa v35, v5, v18 dst_sel:DWORD dst_unused:UNUSED_PAD src0_sel:WORD_1 src1_sel:DWORD
	v_mul_f16_sdwa v36, v11, v15 dst_sel:DWORD dst_unused:UNUSED_PAD src0_sel:WORD_1 src1_sel:DWORD
	;; [unrolled: 1-line block ×3, first 2 shown]
	v_fma_f16 v28, v4, v1, v28
	v_mul_f16_sdwa v29, v12, v27 dst_sel:DWORD dst_unused:UNUSED_PAD src0_sel:WORD_1 src1_sel:DWORD
	v_mul_f16_sdwa v31, v7, v25 dst_sel:DWORD dst_unused:UNUSED_PAD src0_sel:WORD_1 src1_sel:DWORD
	v_fma_f16 v35, v5, v2, v35
	v_fma_f16 v36, v11, v14, v36
	v_mul_f16_sdwa v40, v12, v46 dst_sel:DWORD dst_unused:UNUSED_PAD src0_sel:WORD_1 src1_sel:DWORD
	v_mul_f16_sdwa v1, v4, v1 dst_sel:DWORD dst_unused:UNUSED_PAD src0_sel:WORD_1 src1_sel:DWORD
	v_fma_f16 v3, v6, v26, -v3
	v_mul_f16_sdwa v6, v7, v13 dst_sel:DWORD dst_unused:UNUSED_PAD src0_sel:WORD_1 src1_sel:DWORD
	v_mul_f16_sdwa v14, v11, v14 dst_sel:DWORD dst_unused:UNUSED_PAD src0_sel:WORD_1 src1_sel:DWORD
	;; [unrolled: 1-line block ×3, first 2 shown]
	v_fma_f16 v29, v12, v46, v29
	v_fma_f16 v31, v7, v13, v31
	v_fma_f16 v12, v12, v27, -v40
	v_fma_f16 v1, v4, v17, -v1
	;; [unrolled: 1-line block ×5, first 2 shown]
	v_sub_f16_e32 v30, v28, v29
	v_sub_f16_e32 v33, v31, v32
	;; [unrolled: 1-line block ×3, first 2 shown]
	v_add_f16_e32 v4, v12, v1
	v_add_f16_e32 v7, v6, v3
	;; [unrolled: 1-line block ×6, first 2 shown]
	v_sub_f16_e32 v1, v1, v12
	v_sub_f16_e32 v3, v6, v3
	;; [unrolled: 1-line block ×5, first 2 shown]
	v_add_f16_e32 v33, v33, v37
	v_sub_f16_e32 v13, v4, v7
	v_add_f16_e32 v17, v5, v4
	v_sub_f16_e32 v26, v18, v25
	;; [unrolled: 2-line block ×3, first 2 shown]
	v_sub_f16_e32 v11, v3, v2
	v_add_f16_e32 v3, v3, v2
	v_add_f16_e32 v33, v33, v30
	v_mul_f16_e32 v13, 0x3a52, v13
	v_sub_f16_e32 v14, v7, v5
	s_movk_i32 s12, 0x2b26
	v_add_f16_e32 v7, v7, v17
	v_mul_f16_e32 v26, 0x3a52, v26
	v_sub_f16_e32 v28, v25, v27
	v_add_f16_e32 v25, v25, v31
	v_add_f16_e32 v3, v3, v1
	v_sub_f16_e32 v30, v37, v30
	v_sub_f16_e32 v1, v2, v1
	v_mul_f16_e32 v38, 0x3846, v38
	s_mov_b32 s4, 0xb574
	v_mul_f16_e32 v15, 0x2b26, v14
	v_fma_f16 v14, v14, s12, v13
	v_add_f16_e32 v16, v16, v7
	s_mov_b32 s13, 0xbcab
	v_mul_f16_e32 v29, 0x2b26, v28
	v_fma_f16 v28, v28, s12, v26
	v_add_f16_e32 v0, v0, v25
	v_mul_f16_e32 v11, 0x3846, v11
	v_mul_f16_e32 v32, 0xbb00, v30
	s_movk_i32 s12, 0x3574
	v_mul_f16_e32 v2, 0xbb00, v1
	v_fma_f16 v39, v34, s4, v38
	v_fma_f16 v7, v7, s13, v16
	;; [unrolled: 1-line block ×4, first 2 shown]
	s_mov_b32 s4, 0xbb00
	v_fma_f16 v32, v34, s12, -v32
	v_sub_f16_e32 v4, v5, v4
	s_mov_b32 s13, 0xb9e0
	v_fma_f16 v2, v6, s12, -v2
	s_movk_i32 s12, 0x39e0
	s_mov_b32 s5, 0xb70e
	v_fma_f16 v5, v4, s13, -v13
	v_sub_f16_e32 v18, v27, v18
	v_fma_f16 v4, v4, s12, -v15
	v_fma_f16 v1, v1, s4, -v11
	v_add_f16_e32 v14, v14, v7
	v_fma_f16 v12, v3, s5, v12
	v_add_f16_e32 v5, v5, v7
	v_fma_f16 v2, v3, s5, v2
	v_add_f16_e32 v4, v4, v7
	v_fma_f16 v7, v30, s4, -v38
	v_fma_f16 v1, v3, s5, v1
	v_fma_f16 v3, v18, s12, -v29
	v_fma_f16 v39, v33, s5, v39
	v_add_f16_e32 v28, v28, v25
	v_fma_f16 v32, v33, s5, v32
	v_fma_f16 v26, v18, s13, -v26
	v_fma_f16 v7, v33, s5, v7
	v_add_f16_e32 v3, v3, v25
	v_add_f16_e32 v13, v32, v5
	v_add_f16_e32 v26, v26, v25
	v_sub_f16_e32 v15, v4, v7
	v_add_f16_e32 v11, v1, v3
	v_add_f16_e32 v4, v7, v4
	v_sub_f16_e32 v1, v3, v1
	v_sub_f16_e32 v3, v5, v32
	;; [unrolled: 1-line block ×3, first 2 shown]
	v_add_f16_e32 v7, v12, v28
	v_sub_f16_e32 v6, v26, v2
	v_add_f16_e32 v2, v2, v26
	v_pack_b32_f16 v0, v0, v16
	v_pack_b32_f16 v5, v7, v5
	ds_write2_b32 v19, v0, v5 offset1:160
	v_pack_b32_f16 v0, v2, v3
	v_pack_b32_f16 v1, v1, v4
	v_add_u32_e32 v2, 0x400, v19
	v_add_f16_e32 v17, v39, v14
	v_sub_f16_e32 v31, v28, v12
	ds_write2_b32 v2, v0, v1 offset0:64 offset1:224
	v_pack_b32_f16 v0, v11, v15
	v_pack_b32_f16 v1, v6, v13
	v_add_u32_e32 v2, 0xa00, v19
	ds_write2_b32 v2, v0, v1 offset1:160
	v_pack_b32_f16 v0, v31, v17
	ds_write_b32 v19, v0 offset:3840
.LBB0_53:
	s_or_b64 exec, exec, s[2:3]
	s_waitcnt lgkmcnt(0)
	s_barrier
	ds_read2_b32 v[0:1], v19 offset1:224
	s_mov_b32 s12, 0x1d41d41d
	s_mov_b32 s13, 0x3f4d41d4
	v_mad_u64_u32 v[4:5], s[2:3], s10, v10, 0
	s_waitcnt lgkmcnt(0)
	v_lshrrev_b32_e32 v7, 16, v0
	v_mul_f16_sdwa v2, v24, v7 dst_sel:DWORD dst_unused:UNUSED_PAD src0_sel:WORD_1 src1_sel:DWORD
	v_fma_f16 v2, v24, v0, v2
	v_cvt_f32_f16_e32 v2, v2
	s_movk_i32 s10, 0x1ff
	v_mad_u64_u32 v[5:6], s[2:3], s11, v10, v[5:6]
	v_cvt_f64_f32_e32 v[2:3], v2
	s_movk_i32 s11, 0xffe
	v_mul_f16_sdwa v0, v24, v0 dst_sel:DWORD dst_unused:UNUSED_PAD src0_sel:WORD_1 src1_sel:DWORD
	v_fma_f16 v0, v24, v7, -v0
	v_mul_f64 v[2:3], v[2:3], s[12:13]
	v_cvt_f32_f16_e32 v0, v0
	s_movk_i32 s14, 0x40f
	s_mov_b32 s15, 0x8000
	v_and_or_b32 v2, v3, s10, v2
	v_cmp_ne_u32_e32 vcc, 0, v2
	v_lshrrev_b32_e32 v6, 8, v3
	v_bfe_u32 v10, v3, 20, 11
	v_cndmask_b32_e64 v2, 0, 1, vcc
	v_sub_u32_e32 v11, 0x3f1, v10
	v_and_or_b32 v12, v6, s11, v2
	v_or_b32_e32 v2, 0x1000, v12
	v_med3_i32 v6, v11, 0, 13
	v_lshrrev_b32_e32 v11, v6, v2
	v_lshlrev_b32_e32 v6, v6, v11
	v_cmp_ne_u32_e32 vcc, v6, v2
	v_cndmask_b32_e64 v2, 0, 1, vcc
	v_add_u32_e32 v10, 0xfffffc10, v10
	v_or_b32_e32 v2, v11, v2
	v_lshl_or_b32 v6, v10, 12, v12
	v_cmp_gt_i32_e32 vcc, 1, v10
	v_cndmask_b32_e32 v2, v6, v2, vcc
	v_and_b32_e32 v6, 7, v2
	v_cmp_lt_i32_e32 vcc, 5, v6
	v_cmp_eq_u32_e64 s[2:3], 3, v6
	v_cvt_f64_f32_e32 v[6:7], v0
	v_lshrrev_b32_e32 v2, 2, v2
	s_or_b64 vcc, s[2:3], vcc
	v_addc_co_u32_e32 v11, vcc, 0, v2, vcc
	v_mul_f64 v[6:7], v[6:7], s[12:13]
	v_mov_b32_e32 v2, 0x7c00
	v_cmp_gt_i32_e32 vcc, 31, v10
	v_cndmask_b32_e32 v0, v2, v11, vcc
	v_cmp_ne_u32_e32 vcc, 0, v12
	v_cndmask_b32_e64 v11, 0, 1, vcc
	v_lshl_or_b32 v11, v11, 9, v2
	v_cmp_eq_u32_e32 vcc, s14, v10
	v_cndmask_b32_e32 v0, v0, v11, vcc
	v_lshrrev_b32_e32 v3, 16, v3
	v_and_or_b32 v3, v3, s15, v0
	v_and_or_b32 v0, v7, s10, v6
	v_cmp_ne_u32_e32 vcc, 0, v0
	v_cndmask_b32_e64 v0, 0, 1, vcc
	v_lshrrev_b32_e32 v6, 8, v7
	v_bfe_u32 v10, v7, 20, 11
	v_and_or_b32 v0, v6, s11, v0
	v_sub_u32_e32 v11, 0x3f1, v10
	v_or_b32_e32 v6, 0x1000, v0
	v_med3_i32 v11, v11, 0, 13
	v_lshrrev_b32_e32 v12, v11, v6
	v_lshlrev_b32_e32 v11, v11, v12
	v_cmp_ne_u32_e32 vcc, v11, v6
	v_cndmask_b32_e64 v6, 0, 1, vcc
	v_add_u32_e32 v10, 0xfffffc10, v10
	v_or_b32_e32 v6, v12, v6
	v_lshl_or_b32 v11, v10, 12, v0
	v_cmp_gt_i32_e32 vcc, 1, v10
	v_cndmask_b32_e32 v6, v11, v6, vcc
	v_and_b32_e32 v11, 7, v6
	v_cmp_lt_i32_e32 vcc, 5, v11
	v_cmp_eq_u32_e64 s[2:3], 3, v11
	v_lshrrev_b32_e32 v6, 2, v6
	s_or_b64 vcc, s[2:3], vcc
	v_addc_co_u32_e32 v6, vcc, 0, v6, vcc
	v_cmp_gt_i32_e32 vcc, 31, v10
	v_cndmask_b32_e32 v6, v2, v6, vcc
	v_cmp_ne_u32_e32 vcc, 0, v0
	v_cndmask_b32_e64 v0, 0, 1, vcc
	v_lshl_or_b32 v0, v0, 9, v2
	v_cmp_eq_u32_e32 vcc, s14, v10
	v_cndmask_b32_e32 v14, v6, v0, vcc
	v_add_u32_e32 v0, 0x880, v19
	v_mad_u64_u32 v[10:11], s[2:3], s8, v23, 0
	ds_read2_b32 v[12:13], v0 offset0:16 offset1:240
	v_lshrrev_b32_e32 v15, 16, v7
	v_mov_b32_e32 v0, v11
	v_mad_u64_u32 v[6:7], s[2:3], s9, v23, v[0:1]
	s_waitcnt lgkmcnt(0)
	v_lshrrev_b32_e32 v0, 16, v12
	v_mul_f16_sdwa v7, v22, v0 dst_sel:DWORD dst_unused:UNUSED_PAD src0_sel:WORD_1 src1_sel:DWORD
	v_fma_f16 v7, v22, v12, v7
	v_cvt_f32_f16_e32 v7, v7
	v_mov_b32_e32 v11, v6
	v_and_or_b32 v14, v15, s15, v14
	v_and_b32_e32 v3, 0xffff, v3
	v_cvt_f64_f32_e32 v[6:7], v7
	v_lshl_or_b32 v14, v14, 16, v3
	v_lshlrev_b64 v[3:4], 2, v[4:5]
	v_mov_b32_e32 v15, s7
	v_mul_f64 v[5:6], v[6:7], s[12:13]
	v_add_co_u32_e32 v7, vcc, s6, v3
	v_addc_co_u32_e32 v15, vcc, v15, v4, vcc
	v_lshlrev_b64 v[3:4], 2, v[10:11]
	v_add_co_u32_e32 v3, vcc, v7, v3
	v_addc_co_u32_e32 v4, vcc, v15, v4, vcc
	v_and_or_b32 v5, v6, s10, v5
	v_cmp_ne_u32_e32 vcc, 0, v5
	v_cndmask_b32_e64 v5, 0, 1, vcc
	v_lshrrev_b32_e32 v7, 8, v6
	v_bfe_u32 v10, v6, 20, 11
	v_and_or_b32 v5, v7, s11, v5
	v_sub_u32_e32 v11, 0x3f1, v10
	v_or_b32_e32 v7, 0x1000, v5
	v_med3_i32 v11, v11, 0, 13
	global_store_dword v[3:4], v14, off
	v_lshrrev_b32_e32 v14, v11, v7
	v_lshlrev_b32_e32 v11, v11, v14
	v_cmp_ne_u32_e32 vcc, v11, v7
	v_mul_f16_sdwa v11, v22, v12 dst_sel:DWORD dst_unused:UNUSED_PAD src0_sel:WORD_1 src1_sel:DWORD
	v_cndmask_b32_e64 v7, 0, 1, vcc
	v_fma_f16 v0, v22, v0, -v11
	v_or_b32_e32 v7, v14, v7
	v_add_u32_e32 v14, 0xfffffc10, v10
	v_cvt_f32_f16_e32 v0, v0
	v_lshl_or_b32 v10, v14, 12, v5
	v_cmp_gt_i32_e32 vcc, 1, v14
	v_cndmask_b32_e32 v7, v10, v7, vcc
	v_and_b32_e32 v10, 7, v7
	v_cmp_lt_i32_e32 vcc, 5, v10
	v_cmp_eq_u32_e64 s[2:3], 3, v10
	v_cvt_f64_f32_e32 v[10:11], v0
	v_lshrrev_b32_e32 v7, 2, v7
	s_or_b64 vcc, s[2:3], vcc
	v_addc_co_u32_e32 v0, vcc, 0, v7, vcc
	v_mul_f64 v[10:11], v[10:11], s[12:13]
	v_cmp_gt_i32_e32 vcc, 31, v14
	v_cndmask_b32_e32 v0, v2, v0, vcc
	v_cmp_ne_u32_e32 vcc, 0, v5
	v_cndmask_b32_e64 v5, 0, 1, vcc
	v_lshl_or_b32 v5, v5, 9, v2
	v_cmp_eq_u32_e32 vcc, s14, v14
	v_cndmask_b32_e32 v0, v0, v5, vcc
	v_lshrrev_b32_e32 v5, 16, v6
	v_and_or_b32 v0, v5, s15, v0
	v_and_or_b32 v5, v11, s10, v10
	v_cmp_ne_u32_e32 vcc, 0, v5
	v_cndmask_b32_e64 v5, 0, 1, vcc
	v_lshrrev_b32_e32 v6, 8, v11
	v_bfe_u32 v7, v11, 20, 11
	v_and_or_b32 v5, v6, s11, v5
	v_sub_u32_e32 v10, 0x3f1, v7
	v_or_b32_e32 v6, 0x1000, v5
	v_med3_i32 v10, v10, 0, 13
	v_lshrrev_b32_e32 v12, v10, v6
	v_lshlrev_b32_e32 v10, v10, v12
	v_cmp_ne_u32_e32 vcc, v10, v6
	v_cndmask_b32_e64 v6, 0, 1, vcc
	v_add_u32_e32 v7, 0xfffffc10, v7
	v_or_b32_e32 v6, v12, v6
	v_lshl_or_b32 v10, v7, 12, v5
	v_cmp_gt_i32_e32 vcc, 1, v7
	v_cndmask_b32_e32 v6, v10, v6, vcc
	v_and_b32_e32 v10, 7, v6
	v_cmp_lt_i32_e32 vcc, 5, v10
	v_cmp_eq_u32_e64 s[2:3], 3, v10
	v_lshrrev_b32_e32 v6, 2, v6
	s_or_b64 vcc, s[2:3], vcc
	v_addc_co_u32_e32 v6, vcc, 0, v6, vcc
	v_cmp_gt_i32_e32 vcc, 31, v7
	v_cndmask_b32_e32 v6, v2, v6, vcc
	v_cmp_ne_u32_e32 vcc, 0, v5
	v_cndmask_b32_e64 v5, 0, 1, vcc
	v_lshl_or_b32 v5, v5, 9, v2
	v_cmp_eq_u32_e32 vcc, s14, v7
	v_cndmask_b32_e32 v5, v6, v5, vcc
	v_lshrrev_b32_e32 v6, 16, v11
	v_lshrrev_b32_e32 v10, 16, v1
	v_and_or_b32 v7, v6, s15, v5
	v_mul_f16_sdwa v5, v21, v10 dst_sel:DWORD dst_unused:UNUSED_PAD src0_sel:WORD_1 src1_sel:DWORD
	v_fma_f16 v5, v21, v1, v5
	v_cvt_f32_f16_e32 v5, v5
	s_mul_i32 s2, s9, 0x230
	s_mul_hi_u32 s3, s8, 0x230
	s_add_i32 s3, s3, s2
	v_cvt_f64_f32_e32 v[5:6], v5
	s_mul_i32 s2, s8, 0x230
	v_and_b32_e32 v0, 0xffff, v0
	s_lshl_b64 s[6:7], s[2:3], 2
	v_mul_f64 v[5:6], v[5:6], s[12:13]
	v_lshl_or_b32 v0, v7, 16, v0
	v_mov_b32_e32 v7, s7
	v_add_co_u32_e32 v3, vcc, s6, v3
	v_addc_co_u32_e32 v4, vcc, v4, v7, vcc
	global_store_dword v[3:4], v0, off
	v_and_or_b32 v0, v6, s10, v5
	v_cmp_ne_u32_e32 vcc, 0, v0
	v_cndmask_b32_e64 v0, 0, 1, vcc
	v_lshrrev_b32_e32 v5, 8, v6
	v_bfe_u32 v11, v6, 20, 11
	v_and_or_b32 v5, v5, s11, v0
	v_sub_u32_e32 v12, 0x3f1, v11
	v_or_b32_e32 v0, 0x1000, v5
	v_med3_i32 v12, v12, 0, 13
	v_lshrrev_b32_e32 v14, v12, v0
	v_mul_f16_sdwa v1, v21, v1 dst_sel:DWORD dst_unused:UNUSED_PAD src0_sel:WORD_1 src1_sel:DWORD
	v_lshlrev_b32_e32 v12, v12, v14
	v_fma_f16 v1, v21, v10, -v1
	v_cmp_ne_u32_e32 vcc, v12, v0
	v_cvt_f32_f16_e32 v1, v1
	v_cndmask_b32_e64 v0, 0, 1, vcc
	v_add_u32_e32 v11, 0xfffffc10, v11
	v_or_b32_e32 v0, v14, v0
	v_lshl_or_b32 v12, v11, 12, v5
	v_cmp_gt_i32_e32 vcc, 1, v11
	v_cndmask_b32_e32 v0, v12, v0, vcc
	v_and_b32_e32 v12, 7, v0
	v_lshrrev_b32_e32 v10, 2, v0
	v_cvt_f64_f32_e32 v[0:1], v1
	v_cmp_lt_i32_e32 vcc, 5, v12
	v_cmp_eq_u32_e64 s[2:3], 3, v12
	s_or_b64 vcc, s[2:3], vcc
	v_mul_f64 v[0:1], v[0:1], s[12:13]
	v_addc_co_u32_e32 v10, vcc, 0, v10, vcc
	v_cmp_gt_i32_e32 vcc, 31, v11
	v_cndmask_b32_e32 v10, v2, v10, vcc
	v_cmp_ne_u32_e32 vcc, 0, v5
	v_cndmask_b32_e64 v5, 0, 1, vcc
	v_lshl_or_b32 v5, v5, 9, v2
	v_cmp_eq_u32_e32 vcc, s14, v11
	v_and_or_b32 v0, v1, s10, v0
	v_cndmask_b32_e32 v5, v10, v5, vcc
	v_lshrrev_b32_e32 v6, 16, v6
	v_cmp_ne_u32_e32 vcc, 0, v0
	v_and_or_b32 v5, v6, s15, v5
	v_cndmask_b32_e64 v0, 0, 1, vcc
	v_lshrrev_b32_e32 v6, 8, v1
	v_bfe_u32 v10, v1, 20, 11
	v_and_or_b32 v0, v6, s11, v0
	v_sub_u32_e32 v11, 0x3f1, v10
	v_or_b32_e32 v6, 0x1000, v0
	v_med3_i32 v11, v11, 0, 13
	v_lshrrev_b32_e32 v12, v11, v6
	v_lshlrev_b32_e32 v11, v11, v12
	v_cmp_ne_u32_e32 vcc, v11, v6
	v_cndmask_b32_e64 v6, 0, 1, vcc
	v_add_u32_e32 v10, 0xfffffc10, v10
	v_or_b32_e32 v6, v12, v6
	v_lshl_or_b32 v11, v10, 12, v0
	v_cmp_gt_i32_e32 vcc, 1, v10
	v_cndmask_b32_e32 v6, v11, v6, vcc
	v_and_b32_e32 v11, 7, v6
	v_cmp_lt_i32_e32 vcc, 5, v11
	v_cmp_eq_u32_e64 s[2:3], 3, v11
	v_lshrrev_b32_e32 v6, 2, v6
	s_or_b64 vcc, s[2:3], vcc
	v_addc_co_u32_e32 v6, vcc, 0, v6, vcc
	v_cmp_gt_i32_e32 vcc, 31, v10
	v_cndmask_b32_e32 v6, v2, v6, vcc
	v_cmp_ne_u32_e32 vcc, 0, v0
	v_cndmask_b32_e64 v0, 0, 1, vcc
	v_lshl_or_b32 v0, v0, 9, v2
	v_cmp_eq_u32_e32 vcc, s14, v10
	v_cndmask_b32_e32 v0, v6, v0, vcc
	v_lshrrev_b32_e32 v1, 16, v1
	v_lshrrev_b32_e32 v10, 16, v13
	v_and_or_b32 v6, v1, s15, v0
	v_mul_f16_sdwa v0, v20, v10 dst_sel:DWORD dst_unused:UNUSED_PAD src0_sel:WORD_1 src1_sel:DWORD
	v_fma_f16 v0, v20, v13, v0
	v_cvt_f32_f16_e32 v0, v0
	s_mul_hi_u32 s3, s8, 0xfffffeb0
	s_mul_i32 s2, s9, 0xfffffeb0
	s_sub_i32 s3, s3, s8
	v_cvt_f64_f32_e32 v[0:1], v0
	s_add_i32 s3, s3, s2
	s_mul_i32 s2, s8, 0xfffffeb0
	v_and_b32_e32 v5, 0xffff, v5
	v_mul_f64 v[0:1], v[0:1], s[12:13]
	s_lshl_b64 s[4:5], s[2:3], 2
	v_lshl_or_b32 v5, v6, 16, v5
	v_mov_b32_e32 v6, s5
	v_add_co_u32_e32 v3, vcc, s4, v3
	v_addc_co_u32_e32 v4, vcc, v4, v6, vcc
	v_and_or_b32 v0, v1, s10, v0
	v_cmp_ne_u32_e32 vcc, 0, v0
	global_store_dword v[3:4], v5, off
	v_cndmask_b32_e64 v0, 0, 1, vcc
	v_lshrrev_b32_e32 v5, 8, v1
	v_bfe_u32 v6, v1, 20, 11
	v_and_or_b32 v0, v5, s11, v0
	v_sub_u32_e32 v11, 0x3f1, v6
	v_or_b32_e32 v5, 0x1000, v0
	v_med3_i32 v11, v11, 0, 13
	v_lshrrev_b32_e32 v12, v11, v5
	v_lshlrev_b32_e32 v11, v11, v12
	v_cmp_ne_u32_e32 vcc, v11, v5
	v_cndmask_b32_e64 v5, 0, 1, vcc
	v_or_b32_e32 v5, v12, v5
	v_mul_f16_sdwa v12, v20, v13 dst_sel:DWORD dst_unused:UNUSED_PAD src0_sel:WORD_1 src1_sel:DWORD
	v_fma_f16 v10, v20, v10, -v12
	v_add_u32_e32 v11, 0xfffffc10, v6
	v_cvt_f32_f16_e32 v10, v10
	v_lshl_or_b32 v6, v11, 12, v0
	v_cmp_gt_i32_e32 vcc, 1, v11
	v_cndmask_b32_e32 v5, v6, v5, vcc
	v_and_b32_e32 v6, 7, v5
	v_cmp_lt_i32_e32 vcc, 5, v6
	v_cmp_eq_u32_e64 s[2:3], 3, v6
	v_lshrrev_b32_e32 v12, 2, v5
	v_cvt_f64_f32_e32 v[5:6], v10
	s_or_b64 vcc, s[2:3], vcc
	v_addc_co_u32_e32 v10, vcc, 0, v12, vcc
	v_mul_f64 v[5:6], v[5:6], s[12:13]
	v_cmp_gt_i32_e32 vcc, 31, v11
	v_cndmask_b32_e32 v10, v2, v10, vcc
	v_cmp_ne_u32_e32 vcc, 0, v0
	v_cndmask_b32_e64 v0, 0, 1, vcc
	v_lshl_or_b32 v0, v0, 9, v2
	v_cmp_eq_u32_e32 vcc, s14, v11
	v_cndmask_b32_e32 v0, v10, v0, vcc
	v_lshrrev_b32_e32 v1, 16, v1
	v_and_or_b32 v0, v1, s15, v0
	v_and_or_b32 v1, v6, s10, v5
	v_cmp_ne_u32_e32 vcc, 0, v1
	v_cndmask_b32_e64 v1, 0, 1, vcc
	v_lshrrev_b32_e32 v5, 8, v6
	v_bfe_u32 v10, v6, 20, 11
	v_and_or_b32 v1, v5, s11, v1
	v_sub_u32_e32 v11, 0x3f1, v10
	v_or_b32_e32 v5, 0x1000, v1
	v_med3_i32 v11, v11, 0, 13
	v_lshrrev_b32_e32 v12, v11, v5
	v_lshlrev_b32_e32 v11, v11, v12
	v_cmp_ne_u32_e32 vcc, v11, v5
	v_cndmask_b32_e64 v5, 0, 1, vcc
	v_add_u32_e32 v10, 0xfffffc10, v10
	v_or_b32_e32 v5, v12, v5
	v_lshl_or_b32 v11, v10, 12, v1
	v_cmp_gt_i32_e32 vcc, 1, v10
	v_cndmask_b32_e32 v5, v11, v5, vcc
	v_and_b32_e32 v11, 7, v5
	v_cmp_lt_i32_e32 vcc, 5, v11
	v_cmp_eq_u32_e64 s[2:3], 3, v11
	v_lshrrev_b32_e32 v5, 2, v5
	s_or_b64 vcc, s[2:3], vcc
	v_addc_co_u32_e32 v5, vcc, 0, v5, vcc
	v_cmp_gt_i32_e32 vcc, 31, v10
	v_cndmask_b32_e32 v5, v2, v5, vcc
	v_cmp_ne_u32_e32 vcc, 0, v1
	v_cndmask_b32_e64 v1, 0, 1, vcc
	v_lshl_or_b32 v1, v1, 9, v2
	v_cmp_eq_u32_e32 vcc, s14, v10
	v_cndmask_b32_e32 v1, v5, v1, vcc
	v_lshrrev_b32_e32 v5, 16, v6
	v_and_or_b32 v1, v5, s15, v1
	v_and_b32_e32 v0, 0xffff, v0
	v_lshl_or_b32 v5, v1, 16, v0
	v_add_co_u32_e32 v0, vcc, s6, v3
	v_addc_co_u32_e32 v1, vcc, v4, v7, vcc
	global_store_dword v[0:1], v5, off
	s_and_b64 exec, exec, s[0:1]
	s_cbranch_execz .LBB0_55
; %bb.54:
	global_load_dword v3, v[8:9], off offset:1792
	global_load_dword v10, v[8:9], off offset:4032
	ds_read_b32 v4, v19 offset:1792
	ds_read_b32 v9, v19 offset:4032
	v_mov_b32_e32 v12, s5
	v_add_co_u32_e32 v0, vcc, s4, v0
	s_waitcnt lgkmcnt(1)
	v_lshrrev_b32_e32 v5, 16, v4
	s_waitcnt lgkmcnt(0)
	v_lshrrev_b32_e32 v11, 16, v9
	v_addc_co_u32_e32 v1, vcc, v1, v12, vcc
	s_waitcnt vmcnt(1)
	v_mul_f16_sdwa v6, v5, v3 dst_sel:DWORD dst_unused:UNUSED_PAD src0_sel:DWORD src1_sel:WORD_1
	v_mul_f16_sdwa v7, v4, v3 dst_sel:DWORD dst_unused:UNUSED_PAD src0_sel:DWORD src1_sel:WORD_1
	v_fma_f16 v4, v4, v3, v6
	s_waitcnt vmcnt(0)
	v_mul_f16_sdwa v8, v11, v10 dst_sel:DWORD dst_unused:UNUSED_PAD src0_sel:DWORD src1_sel:WORD_1
	v_cvt_f32_f16_e32 v4, v4
	v_fma_f16 v3, v3, v5, -v7
	v_cvt_f32_f16_e32 v5, v3
	v_fma_f16 v6, v9, v10, v8
	v_cvt_f32_f16_e32 v7, v6
	v_cvt_f64_f32_e32 v[3:4], v4
	v_cvt_f64_f32_e32 v[5:6], v5
	;; [unrolled: 1-line block ×3, first 2 shown]
	v_mul_f64 v[3:4], v[3:4], s[12:13]
	v_mul_f64 v[5:6], v[5:6], s[12:13]
	;; [unrolled: 1-line block ×3, first 2 shown]
	v_and_or_b32 v3, v4, s10, v3
	v_and_or_b32 v5, v6, s10, v5
	v_cmp_ne_u32_e32 vcc, 0, v3
	v_lshrrev_b32_e32 v12, 8, v4
	v_bfe_u32 v13, v4, 20, 11
	v_and_or_b32 v7, v8, s10, v7
	v_cndmask_b32_e64 v3, 0, 1, vcc
	v_cmp_ne_u32_e32 vcc, 0, v5
	v_lshrrev_b32_e32 v14, 8, v6
	v_bfe_u32 v15, v6, 20, 11
	v_bfe_u32 v17, v8, 20, 11
	v_sub_u32_e32 v18, 0x3f1, v13
	v_cndmask_b32_e64 v5, 0, 1, vcc
	v_cmp_ne_u32_e32 vcc, 0, v7
	v_and_or_b32 v3, v12, s11, v3
	v_lshrrev_b32_e32 v16, 8, v8
	v_sub_u32_e32 v19, 0x3f1, v15
	v_cndmask_b32_e64 v7, 0, 1, vcc
	v_sub_u32_e32 v20, 0x3f1, v17
	v_med3_i32 v12, v18, 0, 13
	v_and_or_b32 v5, v14, s11, v5
	v_or_b32_e32 v18, 0x1000, v3
	v_add_u32_e32 v13, 0xfffffc10, v13
	v_med3_i32 v14, v19, 0, 13
	v_and_or_b32 v7, v16, s11, v7
	v_med3_i32 v16, v20, 0, 13
	v_cmp_ne_u32_e32 vcc, 0, v3
	v_or_b32_e32 v20, 0x1000, v5
	v_lshrrev_b32_e32 v24, v12, v18
	v_add_u32_e32 v15, 0xfffffc10, v15
	v_lshl_or_b32 v19, v13, 12, v3
	v_cndmask_b32_e64 v3, 0, 1, vcc
	v_cmp_ne_u32_e32 vcc, 0, v5
	v_or_b32_e32 v22, 0x1000, v7
	v_lshrrev_b32_e32 v25, v14, v20
	v_lshlrev_b32_e32 v12, v12, v24
	v_lshl_or_b32 v21, v15, 12, v5
	v_cndmask_b32_e64 v5, 0, 1, vcc
	v_lshrrev_b32_e32 v26, v16, v22
	v_lshlrev_b32_e32 v14, v14, v25
	v_cmp_ne_u32_e32 vcc, v12, v18
	v_lshlrev_b32_e32 v16, v16, v26
	v_cndmask_b32_e64 v12, 0, 1, vcc
	v_cmp_ne_u32_e32 vcc, v14, v20
	v_cndmask_b32_e64 v14, 0, 1, vcc
	v_cmp_ne_u32_e32 vcc, v16, v22
	v_cndmask_b32_e64 v16, 0, 1, vcc
	v_or_b32_e32 v12, v24, v12
	v_cmp_gt_i32_e32 vcc, 1, v13
	v_add_u32_e32 v17, 0xfffffc10, v17
	v_or_b32_e32 v14, v25, v14
	v_cndmask_b32_e32 v12, v19, v12, vcc
	v_cmp_gt_i32_e32 vcc, 1, v15
	v_lshl_or_b32 v23, v17, 12, v7
	v_or_b32_e32 v16, v26, v16
	v_cndmask_b32_e32 v14, v21, v14, vcc
	v_cmp_gt_i32_e32 vcc, 1, v17
	v_and_b32_e32 v18, 7, v12
	v_cndmask_b32_e32 v16, v23, v16, vcc
	v_cmp_lt_i32_e32 vcc, 5, v18
	v_cmp_eq_u32_e64 s[0:1], 3, v18
	v_lshrrev_b32_e32 v12, 2, v12
	v_and_b32_e32 v19, 7, v14
	s_or_b64 vcc, s[0:1], vcc
	v_cmp_lt_i32_e64 s[2:3], 5, v19
	v_cmp_eq_u32_e64 s[4:5], 3, v19
	v_addc_co_u32_e32 v12, vcc, 0, v12, vcc
	v_lshrrev_b32_e32 v14, 2, v14
	s_or_b64 vcc, s[4:5], s[2:3]
	v_addc_co_u32_e32 v14, vcc, 0, v14, vcc
	v_cmp_gt_i32_e32 vcc, 31, v13
	v_cndmask_b32_e32 v12, v2, v12, vcc
	v_cmp_gt_i32_e32 vcc, 31, v15
	v_lshl_or_b32 v3, v3, 9, v2
	v_cndmask_b32_e32 v14, v2, v14, vcc
	v_cmp_eq_u32_e32 vcc, s14, v13
	v_lshrrev_b32_e32 v4, 16, v4
	v_lshl_or_b32 v5, v5, 9, v2
	v_cndmask_b32_e32 v3, v12, v3, vcc
	v_cmp_eq_u32_e32 vcc, s14, v15
	v_lshrrev_b32_e32 v6, 16, v6
	v_cndmask_b32_e32 v5, v14, v5, vcc
	v_and_or_b32 v3, v4, s15, v3
	v_and_or_b32 v4, v6, s15, v5
	v_and_b32_e32 v3, 0xffff, v3
	v_lshl_or_b32 v3, v4, 16, v3
	global_store_dword v[0:1], v3, off
	v_mul_f16_sdwa v3, v9, v10 dst_sel:DWORD dst_unused:UNUSED_PAD src0_sel:DWORD src1_sel:WORD_1
	v_fma_f16 v3, v10, v11, -v3
	v_cvt_f32_f16_e32 v3, v3
	v_and_b32_e32 v20, 7, v16
	v_cmp_lt_i32_e32 vcc, 5, v20
	v_cmp_eq_u32_e64 s[0:1], 3, v20
	v_cvt_f64_f32_e32 v[3:4], v3
	v_lshrrev_b32_e32 v5, 2, v16
	s_or_b64 vcc, s[0:1], vcc
	v_addc_co_u32_e32 v5, vcc, 0, v5, vcc
	v_mul_f64 v[3:4], v[3:4], s[12:13]
	v_cmp_gt_i32_e32 vcc, 31, v17
	v_cndmask_b32_e32 v5, v2, v5, vcc
	v_cmp_ne_u32_e32 vcc, 0, v7
	v_cndmask_b32_e64 v6, 0, 1, vcc
	v_lshl_or_b32 v6, v6, 9, v2
	v_cmp_eq_u32_e32 vcc, s14, v17
	v_cndmask_b32_e32 v5, v5, v6, vcc
	v_and_or_b32 v3, v4, s10, v3
	v_lshrrev_b32_e32 v6, 16, v8
	v_cmp_ne_u32_e32 vcc, 0, v3
	v_and_or_b32 v5, v6, s15, v5
	v_cndmask_b32_e64 v3, 0, 1, vcc
	v_lshrrev_b32_e32 v6, 8, v4
	v_bfe_u32 v7, v4, 20, 11
	v_and_or_b32 v3, v6, s11, v3
	v_sub_u32_e32 v8, 0x3f1, v7
	v_or_b32_e32 v6, 0x1000, v3
	v_med3_i32 v8, v8, 0, 13
	v_lshrrev_b32_e32 v9, v8, v6
	v_lshlrev_b32_e32 v8, v8, v9
	v_cmp_ne_u32_e32 vcc, v8, v6
	v_cndmask_b32_e64 v6, 0, 1, vcc
	v_add_u32_e32 v7, 0xfffffc10, v7
	v_or_b32_e32 v6, v9, v6
	v_lshl_or_b32 v8, v7, 12, v3
	v_cmp_gt_i32_e32 vcc, 1, v7
	v_cndmask_b32_e32 v6, v8, v6, vcc
	v_and_b32_e32 v8, 7, v6
	v_cmp_lt_i32_e32 vcc, 5, v8
	v_cmp_eq_u32_e64 s[0:1], 3, v8
	v_lshrrev_b32_e32 v6, 2, v6
	s_or_b64 vcc, s[0:1], vcc
	v_addc_co_u32_e32 v6, vcc, 0, v6, vcc
	v_cmp_gt_i32_e32 vcc, 31, v7
	v_cndmask_b32_e32 v6, v2, v6, vcc
	v_cmp_ne_u32_e32 vcc, 0, v3
	v_cndmask_b32_e64 v3, 0, 1, vcc
	v_lshl_or_b32 v2, v3, 9, v2
	v_cmp_eq_u32_e32 vcc, s14, v7
	v_cndmask_b32_e32 v2, v6, v2, vcc
	v_lshrrev_b32_e32 v3, 16, v4
	v_and_or_b32 v2, v3, s15, v2
	v_and_b32_e32 v3, 0xffff, v5
	v_lshl_or_b32 v2, v2, 16, v3
	v_mov_b32_e32 v3, s7
	v_add_co_u32_e32 v0, vcc, s6, v0
	v_addc_co_u32_e32 v1, vcc, v1, v3, vcc
	global_store_dword v[0:1], v2, off
.LBB0_55:
	s_endpgm
	.section	.rodata,"a",@progbits
	.p2align	6, 0x0
	.amdhsa_kernel bluestein_single_back_len1120_dim1_half_op_CI_CI
		.amdhsa_group_segment_fixed_size 4480
		.amdhsa_private_segment_fixed_size 0
		.amdhsa_kernarg_size 104
		.amdhsa_user_sgpr_count 6
		.amdhsa_user_sgpr_private_segment_buffer 1
		.amdhsa_user_sgpr_dispatch_ptr 0
		.amdhsa_user_sgpr_queue_ptr 0
		.amdhsa_user_sgpr_kernarg_segment_ptr 1
		.amdhsa_user_sgpr_dispatch_id 0
		.amdhsa_user_sgpr_flat_scratch_init 0
		.amdhsa_user_sgpr_private_segment_size 0
		.amdhsa_uses_dynamic_stack 0
		.amdhsa_system_sgpr_private_segment_wavefront_offset 0
		.amdhsa_system_sgpr_workgroup_id_x 1
		.amdhsa_system_sgpr_workgroup_id_y 0
		.amdhsa_system_sgpr_workgroup_id_z 0
		.amdhsa_system_sgpr_workgroup_info 0
		.amdhsa_system_vgpr_workitem_id 0
		.amdhsa_next_free_vgpr 62
		.amdhsa_next_free_sgpr 20
		.amdhsa_reserve_vcc 1
		.amdhsa_reserve_flat_scratch 0
		.amdhsa_float_round_mode_32 0
		.amdhsa_float_round_mode_16_64 0
		.amdhsa_float_denorm_mode_32 3
		.amdhsa_float_denorm_mode_16_64 3
		.amdhsa_dx10_clamp 1
		.amdhsa_ieee_mode 1
		.amdhsa_fp16_overflow 0
		.amdhsa_exception_fp_ieee_invalid_op 0
		.amdhsa_exception_fp_denorm_src 0
		.amdhsa_exception_fp_ieee_div_zero 0
		.amdhsa_exception_fp_ieee_overflow 0
		.amdhsa_exception_fp_ieee_underflow 0
		.amdhsa_exception_fp_ieee_inexact 0
		.amdhsa_exception_int_div_zero 0
	.end_amdhsa_kernel
	.text
.Lfunc_end0:
	.size	bluestein_single_back_len1120_dim1_half_op_CI_CI, .Lfunc_end0-bluestein_single_back_len1120_dim1_half_op_CI_CI
                                        ; -- End function
	.section	.AMDGPU.csdata,"",@progbits
; Kernel info:
; codeLenInByte = 11040
; NumSgprs: 24
; NumVgprs: 62
; ScratchSize: 0
; MemoryBound: 0
; FloatMode: 240
; IeeeMode: 1
; LDSByteSize: 4480 bytes/workgroup (compile time only)
; SGPRBlocks: 2
; VGPRBlocks: 15
; NumSGPRsForWavesPerEU: 24
; NumVGPRsForWavesPerEU: 62
; Occupancy: 4
; WaveLimiterHint : 1
; COMPUTE_PGM_RSRC2:SCRATCH_EN: 0
; COMPUTE_PGM_RSRC2:USER_SGPR: 6
; COMPUTE_PGM_RSRC2:TRAP_HANDLER: 0
; COMPUTE_PGM_RSRC2:TGID_X_EN: 1
; COMPUTE_PGM_RSRC2:TGID_Y_EN: 0
; COMPUTE_PGM_RSRC2:TGID_Z_EN: 0
; COMPUTE_PGM_RSRC2:TIDIG_COMP_CNT: 0
	.type	__hip_cuid_81e30c3f9ce5db7b,@object ; @__hip_cuid_81e30c3f9ce5db7b
	.section	.bss,"aw",@nobits
	.globl	__hip_cuid_81e30c3f9ce5db7b
__hip_cuid_81e30c3f9ce5db7b:
	.byte	0                               ; 0x0
	.size	__hip_cuid_81e30c3f9ce5db7b, 1

	.ident	"AMD clang version 19.0.0git (https://github.com/RadeonOpenCompute/llvm-project roc-6.4.0 25133 c7fe45cf4b819c5991fe208aaa96edf142730f1d)"
	.section	".note.GNU-stack","",@progbits
	.addrsig
	.addrsig_sym __hip_cuid_81e30c3f9ce5db7b
	.amdgpu_metadata
---
amdhsa.kernels:
  - .args:
      - .actual_access:  read_only
        .address_space:  global
        .offset:         0
        .size:           8
        .value_kind:     global_buffer
      - .actual_access:  read_only
        .address_space:  global
        .offset:         8
        .size:           8
        .value_kind:     global_buffer
      - .actual_access:  read_only
        .address_space:  global
        .offset:         16
        .size:           8
        .value_kind:     global_buffer
      - .actual_access:  read_only
        .address_space:  global
        .offset:         24
        .size:           8
        .value_kind:     global_buffer
      - .actual_access:  read_only
        .address_space:  global
        .offset:         32
        .size:           8
        .value_kind:     global_buffer
      - .offset:         40
        .size:           8
        .value_kind:     by_value
      - .address_space:  global
        .offset:         48
        .size:           8
        .value_kind:     global_buffer
      - .address_space:  global
        .offset:         56
        .size:           8
        .value_kind:     global_buffer
      - .address_space:  global
        .offset:         64
        .size:           8
        .value_kind:     global_buffer
      - .address_space:  global
        .offset:         72
        .size:           8
        .value_kind:     global_buffer
      - .offset:         80
        .size:           4
        .value_kind:     by_value
      - .address_space:  global
        .offset:         88
        .size:           8
        .value_kind:     global_buffer
      - .address_space:  global
        .offset:         96
        .size:           8
        .value_kind:     global_buffer
    .group_segment_fixed_size: 4480
    .kernarg_segment_align: 8
    .kernarg_segment_size: 104
    .language:       OpenCL C
    .language_version:
      - 2
      - 0
    .max_flat_workgroup_size: 224
    .name:           bluestein_single_back_len1120_dim1_half_op_CI_CI
    .private_segment_fixed_size: 0
    .sgpr_count:     24
    .sgpr_spill_count: 0
    .symbol:         bluestein_single_back_len1120_dim1_half_op_CI_CI.kd
    .uniform_work_group_size: 1
    .uses_dynamic_stack: false
    .vgpr_count:     62
    .vgpr_spill_count: 0
    .wavefront_size: 64
amdhsa.target:   amdgcn-amd-amdhsa--gfx906
amdhsa.version:
  - 1
  - 2
...

	.end_amdgpu_metadata
